;; amdgpu-corpus repo=ROCm/rocFFT kind=compiled arch=gfx906 opt=O3
	.text
	.amdgcn_target "amdgcn-amd-amdhsa--gfx906"
	.amdhsa_code_object_version 6
	.protected	fft_rtc_fwd_len3840_factors_10_6_2_2_2_2_2_2_wgs_128_tpt_128_halfLds_dp_op_CI_CI_unitstride_sbrr_C2R_dirReg ; -- Begin function fft_rtc_fwd_len3840_factors_10_6_2_2_2_2_2_2_wgs_128_tpt_128_halfLds_dp_op_CI_CI_unitstride_sbrr_C2R_dirReg
	.globl	fft_rtc_fwd_len3840_factors_10_6_2_2_2_2_2_2_wgs_128_tpt_128_halfLds_dp_op_CI_CI_unitstride_sbrr_C2R_dirReg
	.p2align	8
	.type	fft_rtc_fwd_len3840_factors_10_6_2_2_2_2_2_2_wgs_128_tpt_128_halfLds_dp_op_CI_CI_unitstride_sbrr_C2R_dirReg,@function
fft_rtc_fwd_len3840_factors_10_6_2_2_2_2_2_2_wgs_128_tpt_128_halfLds_dp_op_CI_CI_unitstride_sbrr_C2R_dirReg: ; @fft_rtc_fwd_len3840_factors_10_6_2_2_2_2_2_2_wgs_128_tpt_128_halfLds_dp_op_CI_CI_unitstride_sbrr_C2R_dirReg
; %bb.0:
	s_load_dwordx4 s[12:15], s[4:5], 0x0
	s_load_dwordx4 s[8:11], s[4:5], 0x58
	;; [unrolled: 1-line block ×3, first 2 shown]
	v_mov_b32_e32 v3, 0
	v_mov_b32_e32 v1, 0
	s_waitcnt lgkmcnt(0)
	v_cmp_lt_u64_e64 s[0:1], s[14:15], 2
	v_mov_b32_e32 v5, s6
	v_mov_b32_e32 v6, v3
	s_and_b64 vcc, exec, s[0:1]
	v_mov_b32_e32 v2, 0
	s_cbranch_vccnz .LBB0_8
; %bb.1:
	s_load_dwordx2 s[0:1], s[4:5], 0x10
	s_add_u32 s2, s18, 8
	s_addc_u32 s3, s19, 0
	s_add_u32 s6, s16, 8
	v_mov_b32_e32 v1, 0
	s_addc_u32 s7, s17, 0
	v_mov_b32_e32 v2, 0
	s_waitcnt lgkmcnt(0)
	s_add_u32 s20, s0, 8
	v_mov_b32_e32 v54, v2
	s_addc_u32 s21, s1, 0
	s_mov_b64 s[22:23], 1
	v_mov_b32_e32 v53, v1
.LBB0_2:                                ; =>This Inner Loop Header: Depth=1
	s_load_dwordx2 s[24:25], s[20:21], 0x0
                                        ; implicit-def: $vgpr55_vgpr56
	s_waitcnt lgkmcnt(0)
	v_or_b32_e32 v4, s25, v6
	v_cmp_ne_u64_e32 vcc, 0, v[3:4]
	s_and_saveexec_b64 s[0:1], vcc
	s_xor_b64 s[26:27], exec, s[0:1]
	s_cbranch_execz .LBB0_4
; %bb.3:                                ;   in Loop: Header=BB0_2 Depth=1
	v_cvt_f32_u32_e32 v4, s24
	v_cvt_f32_u32_e32 v7, s25
	s_sub_u32 s0, 0, s24
	s_subb_u32 s1, 0, s25
	v_mac_f32_e32 v4, 0x4f800000, v7
	v_rcp_f32_e32 v4, v4
	v_mul_f32_e32 v4, 0x5f7ffffc, v4
	v_mul_f32_e32 v7, 0x2f800000, v4
	v_trunc_f32_e32 v7, v7
	v_mac_f32_e32 v4, 0xcf800000, v7
	v_cvt_u32_f32_e32 v7, v7
	v_cvt_u32_f32_e32 v4, v4
	v_mul_lo_u32 v8, s0, v7
	v_mul_hi_u32 v9, s0, v4
	v_mul_lo_u32 v11, s1, v4
	v_mul_lo_u32 v10, s0, v4
	v_add_u32_e32 v8, v9, v8
	v_add_u32_e32 v8, v8, v11
	v_mul_hi_u32 v9, v4, v10
	v_mul_lo_u32 v11, v4, v8
	v_mul_hi_u32 v13, v4, v8
	v_mul_hi_u32 v12, v7, v10
	v_mul_lo_u32 v10, v7, v10
	v_mul_hi_u32 v14, v7, v8
	v_add_co_u32_e32 v9, vcc, v9, v11
	v_addc_co_u32_e32 v11, vcc, 0, v13, vcc
	v_mul_lo_u32 v8, v7, v8
	v_add_co_u32_e32 v9, vcc, v9, v10
	v_addc_co_u32_e32 v9, vcc, v11, v12, vcc
	v_addc_co_u32_e32 v10, vcc, 0, v14, vcc
	v_add_co_u32_e32 v8, vcc, v9, v8
	v_addc_co_u32_e32 v9, vcc, 0, v10, vcc
	v_add_co_u32_e32 v4, vcc, v4, v8
	v_addc_co_u32_e32 v7, vcc, v7, v9, vcc
	v_mul_lo_u32 v8, s0, v7
	v_mul_hi_u32 v9, s0, v4
	v_mul_lo_u32 v10, s1, v4
	v_mul_lo_u32 v11, s0, v4
	v_add_u32_e32 v8, v9, v8
	v_add_u32_e32 v8, v8, v10
	v_mul_lo_u32 v12, v4, v8
	v_mul_hi_u32 v13, v4, v11
	v_mul_hi_u32 v14, v4, v8
	;; [unrolled: 1-line block ×3, first 2 shown]
	v_mul_lo_u32 v11, v7, v11
	v_mul_hi_u32 v9, v7, v8
	v_add_co_u32_e32 v12, vcc, v13, v12
	v_addc_co_u32_e32 v13, vcc, 0, v14, vcc
	v_mul_lo_u32 v8, v7, v8
	v_add_co_u32_e32 v11, vcc, v12, v11
	v_addc_co_u32_e32 v10, vcc, v13, v10, vcc
	v_addc_co_u32_e32 v9, vcc, 0, v9, vcc
	v_add_co_u32_e32 v8, vcc, v10, v8
	v_addc_co_u32_e32 v9, vcc, 0, v9, vcc
	v_add_co_u32_e32 v4, vcc, v4, v8
	v_addc_co_u32_e32 v9, vcc, v7, v9, vcc
	v_mad_u64_u32 v[7:8], s[0:1], v5, v9, 0
	v_mul_hi_u32 v10, v5, v4
	v_add_co_u32_e32 v11, vcc, v10, v7
	v_addc_co_u32_e32 v12, vcc, 0, v8, vcc
	v_mad_u64_u32 v[7:8], s[0:1], v6, v4, 0
	v_mad_u64_u32 v[9:10], s[0:1], v6, v9, 0
	v_add_co_u32_e32 v4, vcc, v11, v7
	v_addc_co_u32_e32 v4, vcc, v12, v8, vcc
	v_addc_co_u32_e32 v7, vcc, 0, v10, vcc
	v_add_co_u32_e32 v4, vcc, v4, v9
	v_addc_co_u32_e32 v9, vcc, 0, v7, vcc
	v_mul_lo_u32 v10, s25, v4
	v_mul_lo_u32 v11, s24, v9
	v_mad_u64_u32 v[7:8], s[0:1], s24, v4, 0
	v_add3_u32 v8, v8, v11, v10
	v_sub_u32_e32 v10, v6, v8
	v_mov_b32_e32 v11, s25
	v_sub_co_u32_e32 v7, vcc, v5, v7
	v_subb_co_u32_e64 v10, s[0:1], v10, v11, vcc
	v_subrev_co_u32_e64 v11, s[0:1], s24, v7
	v_subbrev_co_u32_e64 v10, s[0:1], 0, v10, s[0:1]
	v_cmp_le_u32_e64 s[0:1], s25, v10
	v_cndmask_b32_e64 v12, 0, -1, s[0:1]
	v_cmp_le_u32_e64 s[0:1], s24, v11
	v_cndmask_b32_e64 v11, 0, -1, s[0:1]
	v_cmp_eq_u32_e64 s[0:1], s25, v10
	v_cndmask_b32_e64 v10, v12, v11, s[0:1]
	v_add_co_u32_e64 v11, s[0:1], 2, v4
	v_addc_co_u32_e64 v12, s[0:1], 0, v9, s[0:1]
	v_add_co_u32_e64 v13, s[0:1], 1, v4
	v_addc_co_u32_e64 v14, s[0:1], 0, v9, s[0:1]
	v_subb_co_u32_e32 v8, vcc, v6, v8, vcc
	v_cmp_ne_u32_e64 s[0:1], 0, v10
	v_cmp_le_u32_e32 vcc, s25, v8
	v_cndmask_b32_e64 v10, v14, v12, s[0:1]
	v_cndmask_b32_e64 v12, 0, -1, vcc
	v_cmp_le_u32_e32 vcc, s24, v7
	v_cndmask_b32_e64 v7, 0, -1, vcc
	v_cmp_eq_u32_e32 vcc, s25, v8
	v_cndmask_b32_e32 v7, v12, v7, vcc
	v_cmp_ne_u32_e32 vcc, 0, v7
	v_cndmask_b32_e64 v7, v13, v11, s[0:1]
	v_cndmask_b32_e32 v56, v9, v10, vcc
	v_cndmask_b32_e32 v55, v4, v7, vcc
.LBB0_4:                                ;   in Loop: Header=BB0_2 Depth=1
	s_andn2_saveexec_b64 s[0:1], s[26:27]
	s_cbranch_execz .LBB0_6
; %bb.5:                                ;   in Loop: Header=BB0_2 Depth=1
	v_cvt_f32_u32_e32 v4, s24
	s_sub_i32 s26, 0, s24
	v_mov_b32_e32 v56, v3
	v_rcp_iflag_f32_e32 v4, v4
	v_mul_f32_e32 v4, 0x4f7ffffe, v4
	v_cvt_u32_f32_e32 v4, v4
	v_mul_lo_u32 v7, s26, v4
	v_mul_hi_u32 v7, v4, v7
	v_add_u32_e32 v4, v4, v7
	v_mul_hi_u32 v4, v5, v4
	v_mul_lo_u32 v7, v4, s24
	v_add_u32_e32 v8, 1, v4
	v_sub_u32_e32 v7, v5, v7
	v_subrev_u32_e32 v9, s24, v7
	v_cmp_le_u32_e32 vcc, s24, v7
	v_cndmask_b32_e32 v7, v7, v9, vcc
	v_cndmask_b32_e32 v4, v4, v8, vcc
	v_add_u32_e32 v8, 1, v4
	v_cmp_le_u32_e32 vcc, s24, v7
	v_cndmask_b32_e32 v55, v4, v8, vcc
.LBB0_6:                                ;   in Loop: Header=BB0_2 Depth=1
	s_or_b64 exec, exec, s[0:1]
	v_mul_lo_u32 v4, v56, s24
	v_mul_lo_u32 v9, v55, s25
	v_mad_u64_u32 v[7:8], s[0:1], v55, s24, 0
	s_load_dwordx2 s[0:1], s[6:7], 0x0
	s_load_dwordx2 s[24:25], s[2:3], 0x0
	v_add3_u32 v4, v8, v9, v4
	v_sub_co_u32_e32 v5, vcc, v5, v7
	v_subb_co_u32_e32 v4, vcc, v6, v4, vcc
	s_waitcnt lgkmcnt(0)
	v_mul_lo_u32 v6, s0, v4
	v_mul_lo_u32 v7, s1, v5
	v_mad_u64_u32 v[1:2], s[0:1], s0, v5, v[1:2]
	v_mul_lo_u32 v4, s24, v4
	v_mul_lo_u32 v8, s25, v5
	v_mad_u64_u32 v[53:54], s[0:1], s24, v5, v[53:54]
	s_add_u32 s22, s22, 1
	s_addc_u32 s23, s23, 0
	s_add_u32 s2, s2, 8
	v_add3_u32 v54, v8, v54, v4
	s_addc_u32 s3, s3, 0
	v_mov_b32_e32 v4, s14
	s_add_u32 s6, s6, 8
	v_mov_b32_e32 v5, s15
	s_addc_u32 s7, s7, 0
	v_cmp_ge_u64_e32 vcc, s[22:23], v[4:5]
	s_add_u32 s20, s20, 8
	v_add3_u32 v2, v7, v2, v6
	s_addc_u32 s21, s21, 0
	s_cbranch_vccnz .LBB0_9
; %bb.7:                                ;   in Loop: Header=BB0_2 Depth=1
	v_mov_b32_e32 v5, v55
	v_mov_b32_e32 v6, v56
	s_branch .LBB0_2
.LBB0_8:
	v_mov_b32_e32 v54, v2
	v_mov_b32_e32 v56, v6
	;; [unrolled: 1-line block ×4, first 2 shown]
.LBB0_9:
	s_load_dwordx2 s[4:5], s[4:5], 0x28
	s_lshl_b64 s[6:7], s[14:15], 3
	s_add_u32 s2, s18, s6
	s_addc_u32 s3, s19, s7
                                        ; implicit-def: $vgpr57
                                        ; implicit-def: $vgpr5_vgpr6
	s_waitcnt lgkmcnt(0)
	v_cmp_gt_u64_e64 s[0:1], s[4:5], v[55:56]
	v_cmp_le_u64_e32 vcc, s[4:5], v[55:56]
	s_and_saveexec_b64 s[4:5], vcc
	s_xor_b64 s[4:5], exec, s[4:5]
; %bb.10:
	v_mov_b32_e32 v1, 0
	v_mov_b32_e32 v6, v1
	;; [unrolled: 1-line block ×4, first 2 shown]
                                        ; implicit-def: $vgpr1_vgpr2
; %bb.11:
	s_or_saveexec_b64 s[4:5], s[4:5]
	s_load_dwordx2 s[2:3], s[2:3], 0x0
                                        ; implicit-def: $vgpr59
	s_xor_b64 exec, exec, s[4:5]
	s_cbranch_execz .LBB0_15
; %bb.12:
	s_add_u32 s6, s16, s6
	s_addc_u32 s7, s17, s7
	s_load_dwordx2 s[6:7], s[6:7], 0x0
	v_mov_b32_e32 v7, s9
	v_lshlrev_b64 v[1:2], 4, v[1:2]
	s_waitcnt lgkmcnt(0)
	v_mul_lo_u32 v5, s7, v55
	v_mul_lo_u32 v6, s6, v56
	v_mad_u64_u32 v[3:4], s[6:7], s6, v55, 0
	s_movk_i32 s6, 0x7f
	v_add3_u32 v4, v4, v6, v5
	v_lshlrev_b64 v[3:4], 4, v[3:4]
	v_add_co_u32_e32 v3, vcc, s8, v3
	v_addc_co_u32_e32 v4, vcc, v7, v4, vcc
	v_add_co_u32_e32 v3, vcc, v3, v1
	v_addc_co_u32_e32 v2, vcc, v4, v2, vcc
	v_lshlrev_b32_e32 v1, 4, v0
	v_add_co_u32_e32 v12, vcc, v3, v1
	v_addc_co_u32_e32 v13, vcc, 0, v2, vcc
	global_load_dwordx4 v[4:7], v[12:13], off
	global_load_dwordx4 v[8:11], v[12:13], off offset:2048
	v_or_b32_e32 v12, 0x1000, v1
	v_add_co_u32_e32 v20, vcc, v3, v12
	v_addc_co_u32_e32 v21, vcc, 0, v2, vcc
	v_or_b32_e32 v12, 0x1800, v1
	v_add_co_u32_e32 v22, vcc, v3, v12
	v_addc_co_u32_e32 v23, vcc, 0, v2, vcc
	global_load_dwordx4 v[12:15], v[20:21], off
	global_load_dwordx4 v[16:19], v[22:23], off
	v_or_b32_e32 v20, 0x2000, v1
	v_add_co_u32_e32 v28, vcc, v3, v20
	v_addc_co_u32_e32 v29, vcc, 0, v2, vcc
	v_or_b32_e32 v52, 0x3800, v1
	v_add_co_u32_e32 v36, vcc, v3, v52
	v_addc_co_u32_e32 v37, vcc, 0, v2, vcc
	;; [unrolled: 3-line block ×3, first 2 shown]
	global_load_dwordx4 v[20:23], v[28:29], off
	global_load_dwordx4 v[24:27], v[30:31], off
	v_or_b32_e32 v28, 0x3000, v1
	v_add_co_u32_e32 v38, vcc, v3, v28
	v_addc_co_u32_e32 v39, vcc, 0, v2, vcc
	global_load_dwordx4 v[28:31], v[36:37], off
	global_load_dwordx4 v[32:35], v[38:39], off
	v_or_b32_e32 v36, 0x4000, v1
	v_add_co_u32_e32 v44, vcc, v3, v36
	v_or_b32_e32 v37, 0x4800, v1
	v_addc_co_u32_e32 v45, vcc, 0, v2, vcc
	v_add_co_u32_e32 v46, vcc, v3, v37
	v_or_b32_e32 v38, 0x5000, v1
	v_addc_co_u32_e32 v47, vcc, 0, v2, vcc
	v_add_co_u32_e32 v57, vcc, v3, v38
	v_addc_co_u32_e32 v58, vcc, 0, v2, vcc
	global_load_dwordx4 v[36:39], v[44:45], off
	global_load_dwordx4 v[40:43], v[46:47], off
	v_or_b32_e32 v44, 0x5800, v1
	v_add_co_u32_e32 v59, vcc, v3, v44
	v_addc_co_u32_e32 v60, vcc, 0, v2, vcc
	global_load_dwordx4 v[44:47], v[57:58], off
	global_load_dwordx4 v[48:51], v[59:60], off
	v_or_b32_e32 v57, 0x6000, v1
	v_add_co_u32_e32 v65, vcc, v3, v57
	v_addc_co_u32_e32 v66, vcc, 0, v2, vcc
	v_or_b32_e32 v57, 0x6800, v1
	v_add_co_u32_e32 v67, vcc, v3, v57
	v_addc_co_u32_e32 v68, vcc, 0, v2, vcc
	v_or_b32_e32 v129, 0x7800, v1
	v_add_co_u32_e32 v73, vcc, v3, v129
	global_load_dwordx4 v[57:60], v[65:66], off
	global_load_dwordx4 v[61:64], v[67:68], off
	v_addc_co_u32_e32 v74, vcc, 0, v2, vcc
	v_or_b32_e32 v65, 0x7000, v1
	v_add_co_u32_e32 v75, vcc, v3, v65
	v_addc_co_u32_e32 v76, vcc, 0, v2, vcc
	global_load_dwordx4 v[65:68], v[73:74], off
	global_load_dwordx4 v[69:72], v[75:76], off
	v_or_b32_e32 v73, 0x8000, v1
	v_add_co_u32_e32 v81, vcc, v3, v73
	v_addc_co_u32_e32 v82, vcc, 0, v2, vcc
	v_or_b32_e32 v73, 0x8800, v1
	v_add_co_u32_e32 v83, vcc, v3, v73
	v_addc_co_u32_e32 v84, vcc, 0, v2, vcc
	global_load_dwordx4 v[73:76], v[81:82], off
	global_load_dwordx4 v[77:80], v[83:84], off
	v_or_b32_e32 v81, 0x9000, v1
	v_add_co_u32_e32 v89, vcc, v3, v81
	;; [unrolled: 8-line block ×7, first 2 shown]
	v_addc_co_u32_e32 v122, vcc, 0, v2, vcc
	v_or_b32_e32 v123, 0xe800, v1
	v_add_co_u32_e32 v125, vcc, v3, v123
	v_addc_co_u32_e32 v126, vcc, 0, v2, vcc
	global_load_dwordx4 v[121:124], v[121:122], off
	s_nop 0
	global_load_dwordx4 v[125:128], v[125:126], off
	v_add_u32_e32 v131, 0, v1
	v_add_u32_e32 v1, 0, v52
	s_waitcnt vmcnt(29)
	ds_write_b128 v131, v[4:7]
	s_waitcnt vmcnt(28)
	ds_write_b128 v131, v[8:11] offset:2048
	s_waitcnt vmcnt(27)
	ds_write_b128 v131, v[12:15] offset:4096
	;; [unrolled: 2-line block ×4, first 2 shown]
	s_waitcnt vmcnt(23)
	ds_write_b128 v1, v[28:31]
	ds_write_b128 v131, v[24:27] offset:10240
	s_waitcnt vmcnt(22)
	ds_write_b128 v131, v[32:35] offset:12288
	s_waitcnt vmcnt(21)
	;; [unrolled: 2-line block ×7, first 2 shown]
	ds_write_b128 v131, v[61:64] offset:26624
	v_add_u32_e32 v1, 0, v129
	s_waitcnt vmcnt(15)
	ds_write_b128 v1, v[65:68]
	s_waitcnt vmcnt(14)
	ds_write_b128 v131, v[69:72] offset:28672
	s_waitcnt vmcnt(13)
	ds_write_b128 v131, v[73:76] offset:32768
	;; [unrolled: 2-line block ×8, first 2 shown]
	v_add_u32_e32 v1, 0, v130
	s_waitcnt vmcnt(6)
	ds_write_b128 v1, v[101:104]
	s_waitcnt vmcnt(5)
	ds_write_b128 v131, v[105:108] offset:49152
	v_mov_b32_e32 v1, 0
	v_mov_b32_e32 v6, v1
	v_cmp_eq_u32_e32 vcc, s6, v0
	v_mov_b32_e32 v57, v0
	v_mov_b32_e32 v5, v0
	s_waitcnt vmcnt(4)
	ds_write_b128 v131, v[109:112] offset:51200
	s_waitcnt vmcnt(3)
	ds_write_b128 v131, v[113:116] offset:53248
	;; [unrolled: 2-line block ×5, first 2 shown]
	s_and_saveexec_b64 s[6:7], vcc
	s_cbranch_execz .LBB0_14
; %bb.13:
	v_add_co_u32_e32 v3, vcc, 0xf000, v3
	v_addc_co_u32_e32 v4, vcc, 0, v2, vcc
	global_load_dwordx4 v[7:10], v[3:4], off
	v_mov_b32_e32 v5, 0x7f
	v_mov_b32_e32 v6, 0
	;; [unrolled: 1-line block ×3, first 2 shown]
	s_waitcnt vmcnt(0)
	ds_write_b128 v1, v[7:10] offset:61440
.LBB0_14:
	s_or_b64 exec, exec, s[6:7]
	v_mov_b32_e32 v59, v57
.LBB0_15:
	s_or_b64 exec, exec, s[4:5]
	v_lshlrev_b32_e32 v1, 4, v57
	v_add_u32_e32 v104, 0, v1
	s_waitcnt lgkmcnt(0)
	s_barrier
	v_sub_u32_e32 v13, 0, v1
	ds_read_b64 v[7:8], v104
	ds_read_b64 v[9:10], v13 offset:61440
	s_add_u32 s4, s12, 0xef60
	v_lshlrev_b64 v[94:95], 4, v[5:6]
	s_addc_u32 s5, s13, 0
	v_cmp_ne_u32_e32 vcc, 0, v57
	s_waitcnt lgkmcnt(0)
	v_add_f64 v[1:2], v[7:8], v[9:10]
	v_add_f64 v[3:4], v[7:8], -v[9:10]
	s_and_saveexec_b64 s[6:7], vcc
	s_xor_b64 s[6:7], exec, s[6:7]
	s_cbranch_execz .LBB0_17
; %bb.16:
	v_mov_b32_e32 v2, s5
	v_add_co_u32_e32 v1, vcc, s4, v94
	v_addc_co_u32_e32 v2, vcc, v2, v95, vcc
	global_load_dwordx4 v[3:6], v[1:2], off
	ds_read_b64 v[1:2], v13 offset:61448
	ds_read_b64 v[11:12], v104 offset:8
	v_add_f64 v[14:15], v[7:8], v[9:10]
	v_add_f64 v[9:10], v[7:8], -v[9:10]
	s_waitcnt lgkmcnt(0)
	v_add_f64 v[7:8], v[1:2], v[11:12]
	v_add_f64 v[1:2], v[11:12], -v[1:2]
	s_waitcnt vmcnt(0)
	v_fma_f64 v[11:12], v[9:10], v[5:6], v[14:15]
	v_fma_f64 v[14:15], -v[9:10], v[5:6], v[14:15]
	v_fma_f64 v[16:17], v[7:8], v[5:6], -v[1:2]
	v_fma_f64 v[18:19], v[7:8], v[5:6], v[1:2]
	v_fma_f64 v[1:2], -v[7:8], v[3:4], v[11:12]
	v_fma_f64 v[5:6], v[7:8], v[3:4], v[14:15]
	v_fma_f64 v[7:8], v[9:10], v[3:4], v[16:17]
	;; [unrolled: 1-line block ×3, first 2 shown]
	ds_write_b128 v13, v[5:8] offset:61440
.LBB0_17:
	s_andn2_saveexec_b64 s[6:7], s[6:7]
	s_cbranch_execz .LBB0_19
; %bb.18:
	v_mov_b32_e32 v9, 0
	ds_read_b128 v[5:8], v9 offset:30720
	s_waitcnt lgkmcnt(0)
	v_add_f64 v[5:6], v[5:6], v[5:6]
	v_mul_f64 v[7:8], v[7:8], -2.0
	ds_write_b128 v9, v[5:8] offset:30720
.LBB0_19:
	s_or_b64 exec, exec, s[6:7]
	v_mov_b32_e32 v58, 0
	v_lshlrev_b64 v[96:97], 4, v[57:58]
	v_mov_b32_e32 v6, s5
	v_add_co_u32_e32 v5, vcc, s4, v96
	v_addc_co_u32_e32 v6, vcc, v6, v97, vcc
	global_load_dwordx4 v[5:8], v[5:6], off offset:2048
	v_or_b32_e32 v102, 0x100, v57
	v_mov_b32_e32 v103, v58
	v_lshlrev_b64 v[84:85], 4, v[102:103]
	v_mov_b32_e32 v10, s5
	v_add_co_u32_e32 v9, vcc, s4, v84
	v_addc_co_u32_e32 v10, vcc, v10, v85, vcc
	global_load_dwordx4 v[9:12], v[9:10], off
	v_or_b32_e32 v82, 0x180, v57
	v_mov_b32_e32 v83, v58
	v_lshlrev_b64 v[74:75], 4, v[82:83]
	v_mov_b32_e32 v19, s5
	v_add_co_u32_e32 v18, vcc, s4, v74
	v_addc_co_u32_e32 v19, vcc, v19, v75, vcc
	global_load_dwordx4 v[18:21], v[18:19], off
	ds_write_b128 v104, v[1:4]
	ds_read_b128 v[1:4], v104 offset:2048
	ds_read_b128 v[14:17], v13 offset:59392
	v_or_b32_e32 v98, 0x200, v57
	v_mov_b32_e32 v99, v58
	v_lshlrev_b64 v[76:77], 4, v[98:99]
	v_or_b32_e32 v99, 0x280, v57
	s_waitcnt lgkmcnt(0)
	v_add_f64 v[22:23], v[1:2], v[14:15]
	v_add_f64 v[24:25], v[16:17], v[3:4]
	v_add_f64 v[26:27], v[1:2], -v[14:15]
	v_add_f64 v[1:2], v[3:4], -v[16:17]
	v_mov_b32_e32 v100, v58
	v_lshlrev_b64 v[78:79], 4, v[99:100]
	v_or_b32_e32 v100, 0x300, v57
	v_mov_b32_e32 v101, v58
	v_lshlrev_b64 v[80:81], 4, v[100:101]
	v_or_b32_e32 v103, 0x380, v0
	v_lshlrev_b32_e32 v101, 4, v103
	v_or_b32_e32 v86, 0x400, v57
	v_mov_b32_e32 v87, v58
	v_lshlrev_b64 v[60:61], 4, v[86:87]
	v_add_u32_e32 v83, 0, v101
	v_or_b32_e32 v87, 0x480, v57
	v_mov_b32_e32 v88, v58
	v_lshlrev_b64 v[62:63], 4, v[87:88]
	v_or_b32_e32 v88, 0x500, v57
	v_mov_b32_e32 v89, v58
	v_lshlrev_b64 v[64:65], 4, v[88:89]
	;; [unrolled: 3-line block ×6, first 2 shown]
	s_mov_b32 s17, 0xbfee6f0e
	s_mov_b32 s6, 0x4755a5e
	;; [unrolled: 1-line block ×9, first 2 shown]
	v_mul_u32_u24_e32 v93, 10, v57
	v_lshl_add_u32 v93, v93, 4, 0
	v_subrev_u32_e32 v0, 64, v0
	s_waitcnt vmcnt(2)
	v_fma_f64 v[3:4], v[26:27], v[7:8], v[22:23]
	v_fma_f64 v[14:15], v[24:25], v[7:8], v[1:2]
	v_fma_f64 v[16:17], -v[26:27], v[7:8], v[22:23]
	v_fma_f64 v[7:8], v[24:25], v[7:8], -v[1:2]
	v_mov_b32_e32 v22, s5
	v_fma_f64 v[1:2], -v[24:25], v[5:6], v[3:4]
	v_fma_f64 v[3:4], v[26:27], v[5:6], v[14:15]
	v_fma_f64 v[14:15], v[24:25], v[5:6], v[16:17]
	;; [unrolled: 1-line block ×3, first 2 shown]
	ds_write_b128 v104, v[1:4] offset:2048
	ds_write_b128 v13, v[14:17] offset:59392
	ds_read_b128 v[1:4], v104 offset:4096
	ds_read_b128 v[5:8], v13 offset:57344
	v_add_co_u32_e32 v14, vcc, s4, v76
	v_addc_co_u32_e32 v15, vcc, v22, v77, vcc
	s_waitcnt lgkmcnt(0)
	v_add_f64 v[16:17], v[1:2], v[5:6]
	v_add_f64 v[22:23], v[7:8], v[3:4]
	v_add_f64 v[24:25], v[1:2], -v[5:6]
	v_add_f64 v[5:6], v[3:4], -v[7:8]
	global_load_dwordx4 v[1:4], v[14:15], off
	s_waitcnt vmcnt(2)
	v_fma_f64 v[7:8], v[24:25], v[11:12], v[16:17]
	v_fma_f64 v[14:15], v[22:23], v[11:12], v[5:6]
	v_fma_f64 v[16:17], -v[24:25], v[11:12], v[16:17]
	v_fma_f64 v[11:12], v[22:23], v[11:12], -v[5:6]
	v_fma_f64 v[5:6], -v[22:23], v[9:10], v[7:8]
	v_fma_f64 v[7:8], v[24:25], v[9:10], v[14:15]
	v_fma_f64 v[14:15], v[22:23], v[9:10], v[16:17]
	;; [unrolled: 1-line block ×3, first 2 shown]
	v_mov_b32_e32 v22, s5
	ds_write_b128 v104, v[5:8] offset:4096
	ds_write_b128 v13, v[14:17] offset:57344
	v_add_co_u32_e32 v14, vcc, s4, v78
	v_addc_co_u32_e32 v15, vcc, v22, v79, vcc
	ds_read_b128 v[5:8], v104 offset:6144
	ds_read_b128 v[9:12], v13 offset:55296
	global_load_dwordx4 v[14:17], v[14:15], off
	s_waitcnt lgkmcnt(0)
	v_add_f64 v[22:23], v[5:6], v[9:10]
	v_add_f64 v[24:25], v[11:12], v[7:8]
	v_add_f64 v[26:27], v[5:6], -v[9:10]
	v_add_f64 v[5:6], v[7:8], -v[11:12]
	s_waitcnt vmcnt(2)
	v_fma_f64 v[7:8], v[26:27], v[20:21], v[22:23]
	v_fma_f64 v[9:10], v[24:25], v[20:21], v[5:6]
	v_fma_f64 v[11:12], -v[26:27], v[20:21], v[22:23]
	v_fma_f64 v[20:21], v[24:25], v[20:21], -v[5:6]
	v_fma_f64 v[5:6], -v[24:25], v[18:19], v[7:8]
	v_fma_f64 v[7:8], v[26:27], v[18:19], v[9:10]
	v_fma_f64 v[9:10], v[24:25], v[18:19], v[11:12]
	;; [unrolled: 1-line block ×3, first 2 shown]
	v_mov_b32_e32 v19, s5
	v_add_co_u32_e32 v18, vcc, s4, v80
	ds_write_b128 v104, v[5:8] offset:6144
	ds_write_b128 v13, v[9:12] offset:55296
	v_addc_co_u32_e32 v19, vcc, v19, v81, vcc
	ds_read_b128 v[5:8], v104 offset:8192
	ds_read_b128 v[9:12], v13 offset:53248
	global_load_dwordx4 v[18:21], v[18:19], off
	s_waitcnt lgkmcnt(0)
	v_add_f64 v[22:23], v[5:6], v[9:10]
	v_add_f64 v[24:25], v[11:12], v[7:8]
	v_add_f64 v[9:10], v[5:6], -v[9:10]
	v_add_f64 v[5:6], v[7:8], -v[11:12]
	s_waitcnt vmcnt(2)
	v_fma_f64 v[7:8], v[9:10], v[3:4], v[22:23]
	v_fma_f64 v[11:12], v[24:25], v[3:4], v[5:6]
	v_fma_f64 v[22:23], -v[9:10], v[3:4], v[22:23]
	v_fma_f64 v[26:27], v[24:25], v[3:4], -v[5:6]
	v_fma_f64 v[3:4], -v[24:25], v[1:2], v[7:8]
	v_fma_f64 v[5:6], v[9:10], v[1:2], v[11:12]
	v_fma_f64 v[7:8], v[24:25], v[1:2], v[22:23]
	;; [unrolled: 1-line block ×3, first 2 shown]
	ds_write_b128 v104, v[3:6] offset:8192
	ds_write_b128 v13, v[7:10] offset:53248
	ds_read_b128 v[1:4], v104 offset:10240
	ds_read_b128 v[5:8], v13 offset:51200
	global_load_dwordx4 v[9:12], v101, s[4:5]
	s_waitcnt lgkmcnt(0)
	v_add_f64 v[22:23], v[1:2], v[5:6]
	v_add_f64 v[24:25], v[7:8], v[3:4]
	v_add_f64 v[26:27], v[1:2], -v[5:6]
	v_add_f64 v[1:2], v[3:4], -v[7:8]
	s_waitcnt vmcnt(2)
	v_fma_f64 v[3:4], v[26:27], v[16:17], v[22:23]
	v_fma_f64 v[5:6], v[24:25], v[16:17], v[1:2]
	v_fma_f64 v[7:8], -v[26:27], v[16:17], v[22:23]
	v_fma_f64 v[16:17], v[24:25], v[16:17], -v[1:2]
	v_fma_f64 v[1:2], -v[24:25], v[14:15], v[3:4]
	v_fma_f64 v[3:4], v[26:27], v[14:15], v[5:6]
	v_fma_f64 v[5:6], v[24:25], v[14:15], v[7:8]
	;; [unrolled: 1-line block ×3, first 2 shown]
	ds_write_b128 v104, v[1:4] offset:10240
	ds_write_b128 v13, v[5:8] offset:51200
	v_mov_b32_e32 v15, s5
	ds_read_b128 v[1:4], v104 offset:12288
	ds_read_b128 v[5:8], v13 offset:49152
	v_add_co_u32_e32 v14, vcc, s4, v60
	v_addc_co_u32_e32 v15, vcc, v15, v61, vcc
	global_load_dwordx4 v[14:17], v[14:15], off
	s_waitcnt lgkmcnt(0)
	v_add_f64 v[22:23], v[1:2], v[5:6]
	v_add_f64 v[24:25], v[7:8], v[3:4]
	v_add_f64 v[26:27], v[1:2], -v[5:6]
	v_add_f64 v[1:2], v[3:4], -v[7:8]
	s_waitcnt vmcnt(2)
	v_fma_f64 v[3:4], v[26:27], v[20:21], v[22:23]
	v_fma_f64 v[5:6], v[24:25], v[20:21], v[1:2]
	v_fma_f64 v[7:8], -v[26:27], v[20:21], v[22:23]
	v_fma_f64 v[20:21], v[24:25], v[20:21], -v[1:2]
	v_fma_f64 v[1:2], -v[24:25], v[18:19], v[3:4]
	v_fma_f64 v[3:4], v[26:27], v[18:19], v[5:6]
	v_fma_f64 v[5:6], v[24:25], v[18:19], v[7:8]
	;; [unrolled: 1-line block ×3, first 2 shown]
	ds_write_b128 v104, v[1:4] offset:12288
	ds_write_b128 v13, v[5:8] offset:49152
	ds_read_b128 v[1:4], v83
	ds_read_b128 v[5:8], v13 offset:47104
	v_mov_b32_e32 v19, s5
	v_add_co_u32_e32 v18, vcc, s4, v62
	v_addc_co_u32_e32 v19, vcc, v19, v63, vcc
	s_waitcnt lgkmcnt(0)
	v_add_f64 v[20:21], v[1:2], v[5:6]
	v_add_f64 v[22:23], v[7:8], v[3:4]
	v_add_f64 v[24:25], v[1:2], -v[5:6]
	v_add_f64 v[5:6], v[3:4], -v[7:8]
	global_load_dwordx4 v[1:4], v[18:19], off
	s_waitcnt vmcnt(2)
	v_fma_f64 v[7:8], v[24:25], v[11:12], v[20:21]
	v_fma_f64 v[18:19], v[22:23], v[11:12], v[5:6]
	v_fma_f64 v[20:21], -v[24:25], v[11:12], v[20:21]
	v_fma_f64 v[11:12], v[22:23], v[11:12], -v[5:6]
	v_fma_f64 v[5:6], -v[22:23], v[9:10], v[7:8]
	v_fma_f64 v[7:8], v[24:25], v[9:10], v[18:19]
	v_fma_f64 v[18:19], v[22:23], v[9:10], v[20:21]
	v_fma_f64 v[20:21], v[24:25], v[9:10], v[11:12]
	v_mov_b32_e32 v22, s5
	ds_write_b128 v83, v[5:8]
	ds_write_b128 v13, v[18:21] offset:47104
	v_add_co_u32_e32 v18, vcc, s4, v64
	v_addc_co_u32_e32 v19, vcc, v22, v65, vcc
	ds_read_b128 v[5:8], v104 offset:16384
	ds_read_b128 v[9:12], v13 offset:45056
	global_load_dwordx4 v[18:21], v[18:19], off
	s_waitcnt lgkmcnt(0)
	v_add_f64 v[22:23], v[5:6], v[9:10]
	v_add_f64 v[24:25], v[11:12], v[7:8]
	v_add_f64 v[26:27], v[5:6], -v[9:10]
	v_add_f64 v[5:6], v[7:8], -v[11:12]
	s_waitcnt vmcnt(2)
	v_fma_f64 v[7:8], v[26:27], v[16:17], v[22:23]
	v_fma_f64 v[9:10], v[24:25], v[16:17], v[5:6]
	v_fma_f64 v[11:12], -v[26:27], v[16:17], v[22:23]
	v_fma_f64 v[16:17], v[24:25], v[16:17], -v[5:6]
	v_fma_f64 v[5:6], -v[24:25], v[14:15], v[7:8]
	v_fma_f64 v[7:8], v[26:27], v[14:15], v[9:10]
	v_fma_f64 v[9:10], v[24:25], v[14:15], v[11:12]
	;; [unrolled: 1-line block ×3, first 2 shown]
	v_mov_b32_e32 v15, s5
	v_add_co_u32_e32 v14, vcc, s4, v66
	ds_write_b128 v104, v[5:8] offset:16384
	ds_write_b128 v13, v[9:12] offset:45056
	v_addc_co_u32_e32 v15, vcc, v15, v67, vcc
	ds_read_b128 v[5:8], v104 offset:18432
	ds_read_b128 v[9:12], v13 offset:43008
	global_load_dwordx4 v[14:17], v[14:15], off
	s_waitcnt lgkmcnt(0)
	v_add_f64 v[22:23], v[5:6], v[9:10]
	v_add_f64 v[24:25], v[11:12], v[7:8]
	v_add_f64 v[9:10], v[5:6], -v[9:10]
	v_add_f64 v[5:6], v[7:8], -v[11:12]
	s_waitcnt vmcnt(2)
	v_fma_f64 v[7:8], v[9:10], v[3:4], v[22:23]
	v_fma_f64 v[11:12], v[24:25], v[3:4], v[5:6]
	v_fma_f64 v[22:23], -v[9:10], v[3:4], v[22:23]
	v_fma_f64 v[26:27], v[24:25], v[3:4], -v[5:6]
	v_fma_f64 v[3:4], -v[24:25], v[1:2], v[7:8]
	v_fma_f64 v[5:6], v[9:10], v[1:2], v[11:12]
	v_fma_f64 v[7:8], v[24:25], v[1:2], v[22:23]
	;; [unrolled: 1-line block ×3, first 2 shown]
	ds_write_b128 v104, v[3:6] offset:18432
	ds_write_b128 v13, v[7:10] offset:43008
	ds_read_b128 v[1:4], v104 offset:20480
	ds_read_b128 v[5:8], v13 offset:40960
	v_mov_b32_e32 v11, s5
	v_add_co_u32_e32 v9, vcc, s4, v68
	v_addc_co_u32_e32 v10, vcc, v11, v69, vcc
	s_waitcnt lgkmcnt(0)
	v_add_f64 v[11:12], v[1:2], v[5:6]
	v_add_f64 v[22:23], v[7:8], v[3:4]
	v_add_f64 v[24:25], v[1:2], -v[5:6]
	v_add_f64 v[1:2], v[3:4], -v[7:8]
	global_load_dwordx4 v[5:8], v[9:10], off
	s_waitcnt vmcnt(2)
	v_fma_f64 v[3:4], v[24:25], v[20:21], v[11:12]
	v_fma_f64 v[9:10], v[22:23], v[20:21], v[1:2]
	v_fma_f64 v[11:12], -v[24:25], v[20:21], v[11:12]
	v_fma_f64 v[20:21], v[22:23], v[20:21], -v[1:2]
	v_fma_f64 v[1:2], -v[22:23], v[18:19], v[3:4]
	v_fma_f64 v[3:4], v[24:25], v[18:19], v[9:10]
	v_fma_f64 v[9:10], v[22:23], v[18:19], v[11:12]
	;; [unrolled: 1-line block ×3, first 2 shown]
	v_mov_b32_e32 v19, s5
	ds_write_b128 v104, v[1:4] offset:20480
	ds_write_b128 v13, v[9:12] offset:40960
	v_add_co_u32_e32 v18, vcc, s4, v70
	ds_read_b128 v[1:4], v104 offset:22528
	ds_read_b128 v[9:12], v13 offset:38912
	v_addc_co_u32_e32 v19, vcc, v19, v71, vcc
	global_load_dwordx4 v[18:21], v[18:19], off
	s_waitcnt lgkmcnt(0)
	v_add_f64 v[22:23], v[1:2], v[9:10]
	v_add_f64 v[24:25], v[11:12], v[3:4]
	v_add_f64 v[26:27], v[1:2], -v[9:10]
	v_add_f64 v[1:2], v[3:4], -v[11:12]
	s_waitcnt vmcnt(2)
	v_fma_f64 v[3:4], v[26:27], v[16:17], v[22:23]
	v_fma_f64 v[9:10], v[24:25], v[16:17], v[1:2]
	v_fma_f64 v[11:12], -v[26:27], v[16:17], v[22:23]
	v_fma_f64 v[16:17], v[24:25], v[16:17], -v[1:2]
	v_mov_b32_e32 v22, s5
	v_fma_f64 v[1:2], -v[24:25], v[14:15], v[3:4]
	v_fma_f64 v[3:4], v[26:27], v[14:15], v[9:10]
	v_fma_f64 v[9:10], v[24:25], v[14:15], v[11:12]
	v_fma_f64 v[11:12], v[26:27], v[14:15], v[16:17]
	ds_write_b128 v104, v[1:4] offset:22528
	ds_write_b128 v13, v[9:12] offset:38912
	v_add_co_u32_e32 v1, vcc, s4, v72
	v_addc_co_u32_e32 v2, vcc, v22, v73, vcc
	ds_read_b128 v[9:12], v104 offset:24576
	ds_read_b128 v[14:17], v13 offset:36864
	global_load_dwordx4 v[1:4], v[1:2], off
	s_mov_b32 s4, 0x134454ff
	s_mov_b32 s5, 0x3fee6f0e
	;; [unrolled: 1-line block ×3, first 2 shown]
	s_waitcnt lgkmcnt(0)
	v_add_f64 v[22:23], v[9:10], v[14:15]
	v_add_f64 v[24:25], v[16:17], v[11:12]
	v_add_f64 v[26:27], v[9:10], -v[14:15]
	v_add_f64 v[9:10], v[11:12], -v[16:17]
	s_waitcnt vmcnt(2)
	v_fma_f64 v[11:12], v[26:27], v[7:8], v[22:23]
	v_fma_f64 v[14:15], v[24:25], v[7:8], v[9:10]
	v_fma_f64 v[16:17], -v[26:27], v[7:8], v[22:23]
	v_fma_f64 v[22:23], v[24:25], v[7:8], -v[9:10]
	v_fma_f64 v[7:8], -v[24:25], v[5:6], v[11:12]
	v_fma_f64 v[9:10], v[26:27], v[5:6], v[14:15]
	v_fma_f64 v[14:15], v[24:25], v[5:6], v[16:17]
	;; [unrolled: 1-line block ×3, first 2 shown]
	ds_write_b128 v104, v[7:10] offset:24576
	ds_write_b128 v13, v[14:17] offset:36864
	ds_read_b128 v[5:8], v104 offset:26624
	ds_read_b128 v[9:12], v13 offset:34816
	s_waitcnt lgkmcnt(0)
	v_add_f64 v[14:15], v[5:6], v[9:10]
	v_add_f64 v[16:17], v[11:12], v[7:8]
	v_add_f64 v[22:23], v[5:6], -v[9:10]
	v_add_f64 v[5:6], v[7:8], -v[11:12]
	s_waitcnt vmcnt(1)
	v_fma_f64 v[7:8], v[22:23], v[20:21], v[14:15]
	v_fma_f64 v[9:10], v[16:17], v[20:21], v[5:6]
	v_fma_f64 v[11:12], -v[22:23], v[20:21], v[14:15]
	v_fma_f64 v[14:15], v[16:17], v[20:21], -v[5:6]
	v_fma_f64 v[5:6], -v[16:17], v[18:19], v[7:8]
	v_fma_f64 v[7:8], v[22:23], v[18:19], v[9:10]
	v_fma_f64 v[9:10], v[16:17], v[18:19], v[11:12]
	v_fma_f64 v[11:12], v[22:23], v[18:19], v[14:15]
	ds_write_b128 v104, v[5:8] offset:26624
	ds_write_b128 v13, v[9:12] offset:34816
	ds_read_b128 v[14:17], v104 offset:28672
	ds_read_b128 v[18:21], v13 offset:32768
	s_waitcnt lgkmcnt(0)
	v_add_f64 v[9:10], v[14:15], v[18:19]
	v_add_f64 v[5:6], v[20:21], v[16:17]
	v_add_f64 v[7:8], v[14:15], -v[18:19]
	v_add_f64 v[11:12], v[16:17], -v[20:21]
	s_waitcnt vmcnt(0)
	v_fma_f64 v[14:15], v[7:8], v[3:4], v[9:10]
	v_fma_f64 v[16:17], v[5:6], v[3:4], v[11:12]
	v_fma_f64 v[18:19], -v[7:8], v[3:4], v[9:10]
	v_fma_f64 v[20:21], v[5:6], v[3:4], -v[11:12]
	v_fma_f64 v[9:10], -v[5:6], v[1:2], v[14:15]
	v_fma_f64 v[11:12], v[7:8], v[1:2], v[16:17]
	v_fma_f64 v[3:4], v[5:6], v[1:2], v[18:19]
	;; [unrolled: 1-line block ×3, first 2 shown]
	ds_write_b128 v104, v[9:12] offset:28672
	ds_write_b128 v13, v[3:6] offset:32768
	s_waitcnt lgkmcnt(0)
	s_barrier
	s_barrier
	ds_read_b128 v[9:12], v104
	ds_read_b128 v[1:4], v104 offset:2048
	ds_read_b128 v[17:20], v104 offset:12288
	;; [unrolled: 1-line block ×20, first 2 shown]
	s_waitcnt lgkmcnt(14)
	v_add_f64 v[137:138], v[9:10], v[17:18]
	v_add_f64 v[139:140], v[11:12], v[19:20]
	;; [unrolled: 1-line block ×3, first 2 shown]
	v_add_f64 v[153:154], v[19:20], -v[27:28]
	v_add_f64 v[155:156], v[27:28], -v[19:20]
	s_waitcnt lgkmcnt(12)
	v_add_f64 v[157:158], v[19:20], -v[43:44]
	v_add_f64 v[19:20], v[19:20], v[43:44]
	s_waitcnt lgkmcnt(3)
	v_add_f64 v[163:164], v[113:114], v[121:122]
	s_waitcnt lgkmcnt(1)
	v_add_f64 v[171:172], v[105:106], v[129:130]
	v_add_f64 v[173:174], v[115:116], v[123:124]
	;; [unrolled: 1-line block ×9, first 2 shown]
	v_add_f64 v[143:144], v[27:28], -v[35:36]
	v_add_f64 v[181:182], v[115:116], -v[123:124]
	;; [unrolled: 1-line block ×8, first 2 shown]
	v_add_f64 v[205:206], v[29:30], v[37:38]
	v_add_f64 v[209:210], v[21:22], -v[29:30]
	v_add_f64 v[211:212], v[29:30], -v[21:22]
	;; [unrolled: 1-line block ×6, first 2 shown]
	v_add_f64 v[223:224], v[21:22], v[45:46]
	v_add_f64 v[225:226], v[21:22], -v[45:46]
	v_add_f64 v[227:228], v[23:24], v[47:48]
	v_add_f64 v[21:22], v[137:138], v[25:26]
	;; [unrolled: 1-line block ×3, first 2 shown]
	v_fma_f64 v[27:28], v[149:150], -0.5, v[11:12]
	v_fma_f64 v[11:12], v[19:20], -0.5, v[11:12]
	;; [unrolled: 1-line block ×6, first 2 shown]
	v_add_f64 v[113:114], v[177:178], v[113:114]
	v_add_f64 v[115:116], v[179:180], v[115:116]
	;; [unrolled: 1-line block ×3, first 2 shown]
	v_add_f64 v[145:146], v[17:18], -v[25:26]
	v_add_f64 v[147:148], v[25:26], -v[17:18]
	;; [unrolled: 1-line block ×6, first 2 shown]
	v_add_f64 v[213:214], v[31:32], v[39:40]
	v_fma_f64 v[25:26], v[141:142], -0.5, v[9:10]
	v_fma_f64 v[9:10], v[159:160], -0.5, v[9:10]
	v_add_f64 v[31:32], v[203:204], v[31:32]
	v_add_f64 v[17:18], v[17:18], -v[41:42]
	v_add_f64 v[165:166], v[33:34], -v[41:42]
	;; [unrolled: 1-line block ×10, first 2 shown]
	v_add_f64 v[21:22], v[21:22], v[33:34]
	v_add_f64 v[23:24], v[23:24], v[35:36]
	;; [unrolled: 1-line block ×5, first 2 shown]
	v_fma_f64 v[37:38], v[107:108], s[4:5], v[19:20]
	v_fma_f64 v[121:122], v[187:188], s[4:5], v[51:52]
	;; [unrolled: 1-line block ×5, first 2 shown]
	v_add_f64 v[233:234], v[47:48], -v[39:40]
	v_add_f64 v[235:236], v[39:40], -v[47:48]
	v_add_f64 v[139:140], v[145:146], v[161:162]
	v_add_f64 v[31:32], v[31:32], v[39:40]
	v_fma_f64 v[39:40], v[105:106], s[16:17], v[137:138]
	v_fma_f64 v[113:114], v[157:158], s[4:5], v[25:26]
	;; [unrolled: 1-line block ×6, first 2 shown]
	v_add_f64 v[141:142], v[153:154], v[167:168]
	v_add_f64 v[145:146], v[183:184], v[193:194]
	;; [unrolled: 1-line block ×6, first 2 shown]
	v_fma_f64 v[115:116], v[17:18], s[16:17], v[27:28]
	v_fma_f64 v[163:164], v[151:152], s[4:5], v[11:12]
	;; [unrolled: 1-line block ×5, first 2 shown]
	v_add_f64 v[21:22], v[21:22], v[41:42]
	v_add_f64 v[23:24], v[23:24], v[43:44]
	;; [unrolled: 1-line block ×5, first 2 shown]
	v_fma_f64 v[29:30], v[181:182], s[6:7], v[37:38]
	v_fma_f64 v[41:42], v[105:106], s[14:15], v[121:122]
	;; [unrolled: 1-line block ×5, first 2 shown]
	v_add_f64 v[149:150], v[189:190], v[197:198]
	v_fma_f64 v[37:38], v[143:144], s[6:7], v[113:114]
	v_fma_f64 v[45:46], v[157:158], s[6:7], v[161:162]
	;; [unrolled: 1-line block ×5, first 2 shown]
	v_add_f64 v[167:168], v[31:32], v[47:48]
	v_fma_f64 v[31:32], v[187:188], s[14:15], v[39:40]
	v_fma_f64 v[39:40], v[151:152], s[14:15], v[115:116]
	;; [unrolled: 1-line block ×6, first 2 shown]
	v_add_f64 v[17:18], v[21:22], v[33:34]
	v_add_f64 v[19:20], v[23:24], v[35:36]
	v_add_f64 v[9:10], v[21:22], -v[33:34]
	v_add_f64 v[11:12], v[23:24], -v[35:36]
	v_fma_f64 v[21:22], v[145:146], s[8:9], v[29:30]
	v_fma_f64 v[33:34], v[159:160], s[8:9], v[41:42]
	v_fma_f64 v[35:36], v[155:156], s[8:9], v[43:44]
	v_fma_f64 v[41:42], v[155:156], s[8:9], v[49:50]
	v_fma_f64 v[43:44], v[159:160], s[8:9], v[51:52]
	v_fma_f64 v[29:30], v[139:140], s[8:9], v[37:38]
	v_fma_f64 v[37:38], v[147:148], s[8:9], v[45:46]
	v_fma_f64 v[45:46], v[145:146], s[8:9], v[105:106]
	v_fma_f64 v[137:138], v[139:140], s[8:9], v[25:26]
	v_fma_f64 v[25:26], v[149:150], s[8:9], v[107:108]
	v_fma_f64 v[23:24], v[149:150], s[8:9], v[31:32]
	v_fma_f64 v[31:32], v[141:142], s[8:9], v[39:40]
	v_fma_f64 v[39:40], v[153:154], s[8:9], v[47:48]
	v_fma_f64 v[139:140], v[141:142], s[8:9], v[27:28]
	v_mul_f64 v[27:28], v[21:22], s[18:19]
	v_mul_f64 v[21:22], v[21:22], s[14:15]
	v_mul_f64 v[47:48], v[33:34], s[4:5]
	v_mul_f64 v[51:52], v[41:42], s[8:9]
	v_mul_f64 v[105:106], v[43:44], s[8:9]
	v_mul_f64 v[49:50], v[35:36], s[16:17]
	v_mul_f64 v[107:108], v[45:46], s[18:19]
	v_mul_f64 v[121:122], v[25:26], s[18:19]
	v_fma_f64 v[113:114], v[147:148], s[8:9], v[113:114]
	v_fma_f64 v[115:116], v[153:154], s[8:9], v[115:116]
	;; [unrolled: 1-line block ×5, first 2 shown]
	v_fma_f64 v[35:36], v[43:44], s[4:5], -v[51:52]
	v_fma_f64 v[123:124], v[41:42], s[16:17], -v[105:106]
	v_fma_f64 v[33:34], v[33:34], s[8:9], v[49:50]
	v_fma_f64 v[141:142], v[25:26], s[6:7], -v[107:108]
	v_fma_f64 v[143:144], v[45:46], s[14:15], -v[121:122]
	ds_read_b128 v[105:108], v104 offset:8192
	v_add_f64 v[51:52], v[31:32], v[21:22]
	v_add_f64 v[31:32], v[31:32], -v[21:22]
	v_add_f64 v[45:46], v[37:38], v[23:24]
	v_add_f64 v[25:26], v[37:38], -v[23:24]
	v_add_f64 v[41:42], v[113:114], v[35:36]
	v_add_f64 v[43:44], v[115:116], v[123:124]
	v_add_f64 v[21:22], v[113:114], -v[35:36]
	v_add_f64 v[23:24], v[115:116], -v[123:124]
	ds_read_b128 v[113:116], v104 offset:10240
	ds_read_b128 v[121:124], v104 offset:22528
	s_waitcnt lgkmcnt(2)
	v_add_f64 v[145:146], v[105:106], v[5:6]
	v_add_f64 v[147:148], v[107:108], v[7:8]
	ds_read_b128 v[129:132], v104 offset:32768
	v_add_f64 v[49:50], v[29:30], v[27:28]
	v_add_f64 v[29:30], v[29:30], -v[27:28]
	v_add_f64 v[47:48], v[39:40], v[33:34]
	v_add_f64 v[27:28], v[39:40], -v[33:34]
	v_add_f64 v[37:38], v[137:138], v[141:142]
	v_add_f64 v[39:40], v[139:140], v[143:144]
	v_add_f64 v[33:34], v[137:138], -v[141:142]
	v_add_f64 v[35:36], v[139:140], -v[143:144]
	ds_read_b128 v[137:140], v104 offset:45056
	ds_read_b128 v[141:144], v104 offset:34816
	s_waitcnt lgkmcnt(2)
	v_add_f64 v[153:154], v[145:146], v[129:130]
	v_add_f64 v[155:156], v[147:148], v[131:132]
	ds_read_b128 v[145:148], v104 offset:47104
	ds_read_b128 v[149:152], v104 offset:57344
	s_waitcnt lgkmcnt(3)
	v_add_f64 v[157:158], v[129:130], v[137:138]
	v_add_f64 v[169:170], v[131:132], v[139:140]
	v_add_f64 v[159:160], v[131:132], -v[139:140]
	v_add_f64 v[161:162], v[5:6], -v[129:130]
	s_waitcnt lgkmcnt(0)
	v_add_f64 v[177:178], v[7:8], -v[151:152]
	v_add_f64 v[163:164], v[129:130], -v[5:6]
	;; [unrolled: 1-line block ×4, first 2 shown]
	v_fma_f64 v[157:158], v[157:158], -0.5, v[105:106]
	v_add_f64 v[179:180], v[5:6], v[149:150]
	v_add_f64 v[181:182], v[5:6], -v[149:150]
	v_add_f64 v[5:6], v[7:8], v[151:152]
	v_add_f64 v[7:8], v[153:154], v[137:138]
	;; [unrolled: 1-line block ×3, first 2 shown]
	v_add_f64 v[155:156], v[149:150], -v[137:138]
	v_fma_f64 v[169:170], v[169:170], -0.5, v[107:108]
	v_fma_f64 v[185:186], v[177:178], s[4:5], v[157:158]
	v_add_f64 v[171:172], v[129:130], -v[137:138]
	v_add_f64 v[137:138], v[137:138], -v[149:150]
	;; [unrolled: 1-line block ×4, first 2 shown]
	v_add_f64 v[7:8], v[7:8], v[149:150]
	v_add_f64 v[149:150], v[153:154], v[151:152]
	v_fma_f64 v[153:154], v[205:206], -0.5, v[1:2]
	v_fma_f64 v[151:152], v[223:224], -0.5, v[1:2]
	v_fma_f64 v[1:2], v[181:182], s[16:17], v[169:170]
	v_fma_f64 v[187:188], v[213:214], -0.5, v[3:4]
	v_add_f64 v[155:156], v[161:162], v[155:156]
	v_fma_f64 v[161:162], v[159:160], s[6:7], v[185:186]
	v_fma_f64 v[179:180], v[179:180], -0.5, v[105:106]
	v_fma_f64 v[189:190], v[5:6], -0.5, v[107:108]
	v_add_f64 v[173:174], v[173:174], v[183:184]
	v_fma_f64 v[185:186], v[227:228], -0.5, v[3:4]
	v_fma_f64 v[5:6], v[171:172], s[14:15], v[1:2]
	v_fma_f64 v[183:184], v[225:226], s[16:17], v[187:188]
	v_fma_f64 v[107:108], v[221:222], s[4:5], v[153:154]
	v_fma_f64 v[105:106], v[155:156], s[8:9], v[161:162]
	v_fma_f64 v[195:196], v[159:160], s[16:17], v[179:180]
	v_add_f64 v[191:192], v[217:218], v[233:234]
	v_fma_f64 v[193:194], v[171:172], s[4:5], v[189:190]
	v_add_f64 v[163:164], v[163:164], v[137:138]
	v_fma_f64 v[5:6], v[173:174], s[8:9], v[5:6]
	v_fma_f64 v[183:184], v[215:216], s[14:15], v[183:184]
	v_add_f64 v[175:176], v[175:176], v[139:140]
	v_mul_f64 v[197:198], v[105:106], s[18:19]
	v_mul_f64 v[105:106], v[105:106], s[14:15]
	v_fma_f64 v[139:140], v[177:178], s[6:7], v[195:196]
	v_add_f64 v[1:2], v[165:166], v[7:8]
	v_add_f64 v[161:162], v[209:210], v[229:230]
	v_fma_f64 v[107:108], v[207:208], s[6:7], v[107:108]
	v_fma_f64 v[137:138], v[181:182], s[14:15], v[193:194]
	;; [unrolled: 1-line block ×5, first 2 shown]
	v_add_f64 v[5:6], v[165:166], -v[7:8]
	v_fma_f64 v[165:166], v[163:164], s[8:9], v[139:140]
	v_fma_f64 v[139:140], v[215:216], s[4:5], v[185:186]
	;; [unrolled: 1-line block ×6, first 2 shown]
	v_add_f64 v[107:108], v[183:184], v[195:196]
	v_add_f64 v[3:4], v[167:168], v[149:150]
	v_add_f64 v[7:8], v[167:168], -v[149:150]
	v_fma_f64 v[209:210], v[225:226], s[14:15], v[139:140]
	v_add_f64 v[139:140], v[183:184], -v[195:196]
	v_fma_f64 v[183:184], v[171:172], s[16:17], v[189:190]
	v_fma_f64 v[149:150], v[175:176], s[8:9], v[137:138]
	;; [unrolled: 1-line block ×6, first 2 shown]
	v_add_f64 v[167:168], v[211:212], v[231:232]
	v_add_f64 v[199:200], v[219:220], v[235:236]
	v_fma_f64 v[179:180], v[181:182], s[6:7], v[183:184]
	v_fma_f64 v[181:182], v[207:208], s[4:5], v[151:152]
	;; [unrolled: 1-line block ×12, first 2 shown]
	v_add_f64 v[105:106], v[197:198], v[193:194]
	v_mul_f64 v[201:202], v[149:150], s[4:5]
	v_add_f64 v[137:138], v[197:198], -v[193:194]
	v_fma_f64 v[193:194], v[167:168], s[8:9], v[205:206]
	v_mul_f64 v[155:156], v[163:164], s[8:9]
	v_mul_f64 v[173:174], v[169:170], s[8:9]
	v_fma_f64 v[167:168], v[167:168], s[8:9], v[171:172]
	v_fma_f64 v[171:172], v[199:200], s[8:9], v[175:176]
	v_fma_f64 v[175:176], v[207:208], s[14:15], v[153:154]
	v_fma_f64 v[177:178], v[215:216], s[6:7], v[177:178]
	v_mul_f64 v[179:180], v[157:158], s[18:19]
	v_mul_f64 v[181:182], v[159:160], s[18:19]
	v_mul_f64 v[203:204], v[165:166], s[16:17]
	v_fma_f64 v[165:166], v[165:166], s[8:9], v[201:202]
	v_fma_f64 v[169:170], v[169:170], s[4:5], -v[155:156]
	v_fma_f64 v[163:164], v[163:164], s[16:17], -v[173:174]
	v_fma_f64 v[173:174], v[161:162], s[8:9], v[175:176]
	v_fma_f64 v[175:176], v[191:192], s[8:9], v[177:178]
	v_fma_f64 v[177:178], v[159:160], s[6:7], -v[179:180]
	v_fma_f64 v[179:180], v[157:158], s[14:15], -v[181:182]
	v_add_f64 v[181:182], v[13:14], v[109:110]
	v_add_f64 v[183:184], v[15:16], v[111:112]
	v_fma_f64 v[189:190], v[149:150], s[8:9], v[203:204]
	v_fma_f64 v[195:196], v[199:200], s[8:9], v[209:210]
	v_add_f64 v[149:150], v[193:194], v[165:166]
	v_add_f64 v[153:154], v[193:194], -v[165:166]
	v_add_f64 v[157:158], v[167:168], v[169:170]
	v_add_f64 v[159:160], v[171:172], v[163:164]
	v_add_f64 v[161:162], v[167:168], -v[169:170]
	v_add_f64 v[163:164], v[171:172], -v[163:164]
	v_add_f64 v[165:166], v[173:174], v[177:178]
	v_add_f64 v[167:168], v[175:176], v[179:180]
	v_add_f64 v[169:170], v[173:174], -v[177:178]
	v_add_f64 v[171:172], v[175:176], -v[179:180]
	v_add_f64 v[173:174], v[181:182], v[117:118]
	v_add_f64 v[175:176], v[183:184], v[119:120]
	;; [unrolled: 1-line block ×3, first 2 shown]
	v_add_f64 v[155:156], v[195:196], -v[189:190]
	v_add_f64 v[177:178], v[117:118], v[125:126]
	v_add_f64 v[179:180], v[119:120], -v[127:128]
	v_add_f64 v[181:182], v[109:110], -v[117:118]
	;; [unrolled: 1-line block ×3, first 2 shown]
	v_add_f64 v[185:186], v[119:120], v[127:128]
	v_add_f64 v[187:188], v[117:118], -v[125:126]
	v_add_f64 v[117:118], v[111:112], -v[119:120]
	v_add_f64 v[119:120], v[119:120], -v[111:112]
	v_add_f64 v[189:190], v[111:112], -v[135:136]
	v_add_f64 v[191:192], v[109:110], v[133:134]
	v_add_f64 v[193:194], v[109:110], -v[133:134]
	v_add_f64 v[109:110], v[111:112], v[135:136]
	v_add_f64 v[111:112], v[173:174], v[125:126]
	;; [unrolled: 1-line block ×5, first 2 shown]
	v_add_f64 v[197:198], v[133:134], -v[125:126]
	v_add_f64 v[125:126], v[125:126], -v[133:134]
	;; [unrolled: 1-line block ×4, first 2 shown]
	v_add_f64 v[111:112], v[111:112], v[133:134]
	v_add_f64 v[133:134], v[173:174], v[135:136]
	;; [unrolled: 1-line block ×5, first 2 shown]
	ds_read_b128 v[129:132], v104 offset:59392
	v_add_f64 v[195:196], v[143:144], -v[147:148]
	v_add_f64 v[205:206], v[143:144], v[147:148]
	v_add_f64 v[207:208], v[123:124], -v[143:144]
	v_add_f64 v[143:144], v[143:144], -v[123:124]
	s_waitcnt lgkmcnt(0)
	v_add_f64 v[209:210], v[123:124], -v[131:132]
	v_add_f64 v[123:124], v[123:124], v[131:132]
	v_add_f64 v[135:136], v[135:136], v[145:146]
	;; [unrolled: 1-line block ×3, first 2 shown]
	v_fma_f64 v[175:176], v[175:176], -0.5, v[113:114]
	v_add_f64 v[201:202], v[121:122], -v[141:142]
	v_add_f64 v[203:204], v[141:142], -v[121:122]
	;; [unrolled: 1-line block ×3, first 2 shown]
	v_add_f64 v[211:212], v[121:122], v[129:130]
	v_add_f64 v[121:122], v[121:122], -v[129:130]
	v_add_f64 v[213:214], v[129:130], -v[145:146]
	;; [unrolled: 1-line block ×3, first 2 shown]
	v_fma_f64 v[205:206], v[205:206], -0.5, v[115:116]
	v_add_f64 v[215:216], v[131:132], -v[147:148]
	v_add_f64 v[147:148], v[147:148], -v[131:132]
	v_add_f64 v[129:130], v[135:136], v[129:130]
	v_add_f64 v[131:132], v[173:174], v[131:132]
	v_fma_f64 v[135:136], v[177:178], -0.5, v[13:14]
	v_fma_f64 v[173:174], v[191:192], -0.5, v[13:14]
	v_fma_f64 v[13:14], v[209:210], s[4:5], v[175:176]
	v_fma_f64 v[123:124], v[123:124], -0.5, v[115:116]
	v_fma_f64 v[177:178], v[121:122], s[16:17], v[205:206]
	v_fma_f64 v[191:192], v[109:110], -0.5, v[15:16]
	v_fma_f64 v[211:212], v[211:212], -0.5, v[113:114]
	v_add_f64 v[201:202], v[201:202], v[213:214]
	v_add_f64 v[109:110], v[111:112], -v[129:130]
	v_fma_f64 v[185:186], v[185:186], -0.5, v[15:16]
	v_fma_f64 v[113:114], v[195:196], s[6:7], v[13:14]
	v_add_f64 v[13:14], v[111:112], v[129:130]
	v_fma_f64 v[129:130], v[141:142], s[4:5], v[123:124]
	v_add_f64 v[207:208], v[207:208], v[215:216]
	;; [unrolled: 2-line block ×3, first 2 shown]
	v_add_f64 v[111:112], v[133:134], -v[131:132]
	v_fma_f64 v[131:132], v[195:196], s[16:17], v[211:212]
	v_fma_f64 v[113:114], v[201:202], s[8:9], v[113:114]
	v_add_f64 v[143:144], v[143:144], v[147:148]
	v_fma_f64 v[129:130], v[121:122], s[14:15], v[129:130]
	v_fma_f64 v[133:134], v[189:190], s[4:5], v[135:136]
	;; [unrolled: 1-line block ×4, first 2 shown]
	v_add_f64 v[145:146], v[203:204], v[145:146]
	v_fma_f64 v[131:132], v[209:210], s[6:7], v[131:132]
	v_mul_f64 v[147:148], v[113:114], s[18:19]
	v_mul_f64 v[113:114], v[113:114], s[14:15]
	v_fma_f64 v[129:130], v[143:144], s[8:9], v[129:130]
	v_add_f64 v[181:182], v[181:182], v[197:198]
	v_add_f64 v[197:198], v[117:118], v[199:200]
	v_fma_f64 v[117:118], v[179:180], s[6:7], v[133:134]
	v_fma_f64 v[133:134], v[187:188], s[14:15], v[177:178]
	;; [unrolled: 1-line block ×6, first 2 shown]
	v_mul_f64 v[199:200], v[129:130], s[4:5]
	v_fma_f64 v[115:116], v[187:188], s[4:5], v[191:192]
	v_fma_f64 v[117:118], v[181:182], s[8:9], v[117:118]
	;; [unrolled: 1-line block ×3, first 2 shown]
	v_mul_f64 v[203:204], v[131:132], s[16:17]
	v_add_f64 v[125:126], v[183:184], v[125:126]
	v_add_f64 v[127:128], v[119:120], v[127:128]
	v_fma_f64 v[119:120], v[189:190], s[6:7], v[113:114]
	v_fma_f64 v[131:132], v[131:132], s[8:9], v[199:200]
	;; [unrolled: 1-line block ×7, first 2 shown]
	v_add_f64 v[113:114], v[117:118], v[147:148]
	v_add_f64 v[115:116], v[133:134], v[177:178]
	v_fma_f64 v[129:130], v[129:130], s[8:9], v[203:204]
	v_fma_f64 v[203:204], v[125:126], s[8:9], v[119:120]
	v_add_f64 v[117:118], v[117:118], -v[147:148]
	v_add_f64 v[119:120], v[133:134], -v[177:178]
	v_fma_f64 v[133:134], v[209:210], s[14:15], v[199:200]
	v_fma_f64 v[147:148], v[121:122], s[6:7], v[123:124]
	;; [unrolled: 1-line block ×16, first 2 shown]
	v_mul_f64 v[177:178], v[133:134], s[8:9]
	v_mul_f64 v[185:186], v[143:144], s[8:9]
	v_fma_f64 v[145:146], v[187:188], s[6:7], v[145:146]
	v_mul_f64 v[179:180], v[147:148], s[18:19]
	v_mul_f64 v[187:188], v[141:142], s[18:19]
	v_fma_f64 v[173:174], v[125:126], s[8:9], v[173:174]
	v_fma_f64 v[175:176], v[127:128], s[8:9], v[175:176]
	;; [unrolled: 1-line block ×3, first 2 shown]
	v_fma_f64 v[143:144], v[143:144], s[4:5], -v[177:178]
	v_fma_f64 v[177:178], v[133:134], s[16:17], -v[185:186]
	v_fma_f64 v[185:186], v[197:198], s[8:9], v[145:146]
	v_fma_f64 v[145:146], v[141:142], s[6:7], -v[179:180]
	v_fma_f64 v[147:148], v[147:148], s[14:15], -v[187:188]
	s_movk_i32 s4, 0xcd
	v_add_f64 v[121:122], v[203:204], v[131:132]
	v_add_f64 v[123:124], v[183:184], v[129:130]
	v_add_f64 v[125:126], v[203:204], -v[131:132]
	v_add_f64 v[127:128], v[183:184], -v[129:130]
	v_add_f64 v[129:130], v[173:174], v[143:144]
	v_add_f64 v[131:132], v[175:176], v[177:178]
	v_add_f64 v[133:134], v[173:174], -v[143:144]
	v_add_f64 v[135:136], v[175:176], -v[177:178]
	;; [unrolled: 4-line block ×3, first 2 shown]
	s_barrier
	ds_write_b128 v93, v[17:20]
	ds_write_b128 v93, v[49:52] offset:16
	ds_write_b128 v93, v[45:48] offset:32
	;; [unrolled: 1-line block ×29, first 2 shown]
	v_mul_lo_u16_sdwa v1, v57, s4 dst_sel:DWORD dst_unused:UNUSED_PAD src0_sel:BYTE_0 src1_sel:DWORD
	v_lshrrev_b16_e32 v48, 11, v1
	v_mul_lo_u16_e32 v1, 10, v48
	v_sub_u16_e32 v49, v57, v1
	v_mov_b32_e32 v21, 5
	v_mul_u32_u24_sdwa v1, v49, v21 dst_sel:DWORD dst_unused:UNUSED_PAD src0_sel:BYTE_0 src1_sel:DWORD
	v_lshlrev_b32_e32 v22, 4, v1
	s_waitcnt lgkmcnt(0)
	s_barrier
	global_load_dwordx4 v[5:8], v22, s[12:13]
	global_load_dwordx4 v[9:12], v22, s[12:13] offset:16
	global_load_dwordx4 v[13:16], v22, s[12:13] offset:32
	;; [unrolled: 1-line block ×4, first 2 shown]
	v_or_b32_e32 v45, 0x80, v57
	v_mul_lo_u16_sdwa v22, v45, s4 dst_sel:DWORD dst_unused:UNUSED_PAD src0_sel:BYTE_0 src1_sel:DWORD
	v_lshrrev_b16_e32 v46, 11, v22
	v_mul_lo_u16_e32 v22, 10, v46
	v_sub_u16_e32 v47, v45, v22
	v_mul_u32_u24_sdwa v21, v47, v21 dst_sel:DWORD dst_unused:UNUSED_PAD src0_sel:BYTE_0 src1_sel:DWORD
	v_lshlrev_b32_e32 v50, 4, v21
	global_load_dwordx4 v[21:24], v50, s[12:13]
	global_load_dwordx4 v[25:28], v50, s[12:13] offset:16
	global_load_dwordx4 v[29:32], v50, s[12:13] offset:32
	;; [unrolled: 1-line block ×4, first 2 shown]
	s_mov_b32 s4, 0xcccd
	v_mul_u32_u24_sdwa v50, v102, s4 dst_sel:DWORD dst_unused:UNUSED_PAD src0_sel:WORD_0 src1_sel:DWORD
	ds_read_b128 v[37:40], v104 offset:10240
	ds_read_b128 v[41:44], v104 offset:8192
	v_lshrrev_b32_e32 v93, 19, v50
	ds_read_b128 v[109:112], v104 offset:20480
	ds_read_b128 v[117:120], v104 offset:22528
	v_mul_lo_u16_e32 v50, 10, v93
	v_sub_u16_e32 v213, v102, v50
	v_mul_u32_u24_e32 v50, 5, v213
	v_lshlrev_b32_e32 v137, 4, v50
	global_load_dwordx4 v[113:116], v137, s[12:13]
	global_load_dwordx4 v[121:124], v137, s[12:13] offset:16
	global_load_dwordx4 v[125:128], v137, s[12:13] offset:32
	ds_read_b128 v[133:136], v104 offset:28672
	s_mov_b32 s7, 0xbfebb67a
	s_waitcnt vmcnt(12) lgkmcnt(4)
	v_mul_f64 v[51:52], v[39:40], v[7:8]
	v_mul_f64 v[7:8], v[37:38], v[7:8]
	s_waitcnt vmcnt(11) lgkmcnt(2)
	v_mul_f64 v[129:130], v[111:112], v[11:12]
	v_fma_f64 v[50:51], v[37:38], v[5:6], -v[51:52]
	v_fma_f64 v[181:182], v[39:40], v[5:6], v[7:8]
	v_mul_f64 v[5:6], v[109:110], v[11:12]
	v_fma_f64 v[183:184], v[109:110], v[9:10], -v[129:130]
	global_load_dwordx4 v[129:132], v137, s[12:13] offset:48
	v_mul_u32_u24_sdwa v7, v82, s4 dst_sel:DWORD dst_unused:UNUSED_PAD src0_sel:WORD_0 src1_sel:DWORD
	ds_read_b128 v[37:40], v104 offset:30720
	v_lshrrev_b32_e32 v7, 19, v7
	v_mul_lo_u16_e32 v8, 10, v7
	v_sub_u16_e32 v8, v82, v8
	v_mul_u32_u24_e32 v11, 5, v8
	v_lshlrev_b32_e32 v52, 4, v11
	s_waitcnt vmcnt(11) lgkmcnt(0)
	v_mul_f64 v[145:146], v[39:40], v[15:16]
	v_mul_f64 v[15:16], v[37:38], v[15:16]
	global_load_dwordx4 v[137:140], v137, s[12:13] offset:64
	v_fma_f64 v[185:186], v[111:112], v[9:10], v[5:6]
	ds_read_b128 v[109:112], v104 offset:40960
	global_load_dwordx4 v[141:144], v52, s[12:13]
	global_load_dwordx4 v[9:12], v52, s[12:13] offset:16
	v_mul_u32_u24_sdwa v5, v98, s4 dst_sel:DWORD dst_unused:UNUSED_PAD src0_sel:WORD_0 src1_sel:DWORD
	v_fma_f64 v[187:188], v[37:38], v[13:14], -v[145:146]
	v_fma_f64 v[189:190], v[39:40], v[13:14], v[15:16]
	ds_read_b128 v[13:16], v104 offset:51200
	ds_read_b128 v[37:40], v104 offset:43008
	global_load_dwordx4 v[149:152], v52, s[12:13] offset:32
	ds_read_b128 v[145:148], v104 offset:49152
	global_load_dwordx4 v[153:156], v52, s[12:13] offset:48
	global_load_dwordx4 v[157:160], v52, s[12:13] offset:64
	v_lshrrev_b32_e32 v5, 19, v5
	ds_read_b128 v[161:164], v104 offset:12288
	ds_read_b128 v[169:172], v104 offset:14336
	v_mul_lo_u16_e32 v6, 10, v5
	v_sub_u16_e32 v6, v98, v6
	v_mul_u32_u24_e32 v52, 5, v6
	v_lshlrev_b32_e32 v52, 4, v52
	s_waitcnt vmcnt(16) lgkmcnt(5)
	v_mul_f64 v[173:174], v[111:112], v[3:4]
	v_mul_f64 v[3:4], v[109:110], v[3:4]
	s_waitcnt vmcnt(15) lgkmcnt(4)
	v_mul_f64 v[175:176], v[15:16], v[19:20]
	v_mul_f64 v[19:20], v[13:14], v[19:20]
	global_load_dwordx4 v[165:168], v52, s[12:13]
	s_waitcnt vmcnt(15) lgkmcnt(1)
	v_mul_f64 v[177:178], v[163:164], v[23:24]
	v_mul_f64 v[23:24], v[161:162], v[23:24]
	s_waitcnt vmcnt(12)
	v_mul_f64 v[205:206], v[39:40], v[35:36]
	v_fma_f64 v[191:192], v[109:110], v[1:2], -v[173:174]
	v_fma_f64 v[193:194], v[111:112], v[1:2], v[3:4]
	global_load_dwordx4 v[109:112], v52, s[12:13] offset:16
	v_fma_f64 v[195:196], v[13:14], v[17:18], -v[175:176]
	v_fma_f64 v[197:198], v[15:16], v[17:18], v[19:20]
	global_load_dwordx4 v[13:16], v52, s[12:13] offset:32
	global_load_dwordx4 v[17:20], v52, s[12:13] offset:48
	v_fma_f64 v[199:200], v[161:162], v[21:22], -v[177:178]
	v_fma_f64 v[201:202], v[163:164], v[21:22], v[23:24]
	global_load_dwordx4 v[21:24], v52, s[12:13] offset:64
	ds_read_b128 v[1:4], v104 offset:32768
	ds_read_b128 v[161:164], v104 offset:34816
	v_mul_f64 v[177:178], v[119:120], v[27:28]
	ds_read_b128 v[173:176], v104 offset:53248
	v_mul_f64 v[27:28], v[117:118], v[27:28]
	s_waitcnt lgkmcnt(2)
	v_mul_f64 v[203:204], v[3:4], v[31:32]
	v_mul_f64 v[31:32], v[1:2], v[31:32]
	;; [unrolled: 1-line block ×3, first 2 shown]
	v_fma_f64 v[205:206], v[37:38], v[33:34], -v[205:206]
	s_mov_b32 s4, 0xe8584caa
	v_fma_f64 v[117:118], v[117:118], v[25:26], -v[177:178]
	ds_read_b128 v[177:180], v104 offset:55296
	s_waitcnt vmcnt(15) lgkmcnt(1)
	v_mul_f64 v[207:208], v[175:176], v[107:108]
	v_fma_f64 v[203:204], v[1:2], v[29:30], -v[203:204]
	v_fma_f64 v[209:210], v[3:4], v[29:30], v[31:32]
	v_mul_f64 v[29:30], v[173:174], v[107:108]
	ds_read_b128 v[1:4], v104 offset:24576
	v_fma_f64 v[119:120], v[119:120], v[25:26], v[27:28]
	ds_read_b128 v[25:28], v104 offset:26624
	v_fma_f64 v[211:212], v[39:40], v[33:34], v[35:36]
	s_waitcnt vmcnt(14)
	v_mul_f64 v[33:34], v[171:172], v[115:116]
	v_mul_f64 v[35:36], v[169:170], v[115:116]
	s_waitcnt vmcnt(13) lgkmcnt(1)
	v_mul_f64 v[37:38], v[3:4], v[123:124]
	v_fma_f64 v[173:174], v[173:174], v[105:106], -v[207:208]
	v_fma_f64 v[115:116], v[175:176], v[105:106], v[29:30]
	v_mul_f64 v[39:40], v[1:2], v[123:124]
	s_waitcnt vmcnt(12)
	v_mul_f64 v[105:106], v[163:164], v[127:128]
	ds_read_b128 v[29:32], v104 offset:45056
	v_mul_f64 v[107:108], v[161:162], v[127:128]
	v_fma_f64 v[123:124], v[169:170], v[113:114], -v[33:34]
	v_fma_f64 v[113:114], v[171:172], v[113:114], v[35:36]
	ds_read_b128 v[33:36], v104 offset:47104
	v_fma_f64 v[127:128], v[1:2], v[121:122], -v[37:38]
	s_waitcnt vmcnt(11) lgkmcnt(1)
	v_mul_f64 v[37:38], v[31:32], v[131:132]
	v_fma_f64 v[121:122], v[3:4], v[121:122], v[39:40]
	v_fma_f64 v[161:162], v[161:162], v[125:126], -v[105:106]
	v_mul_f64 v[105:106], v[29:30], v[131:132]
	ds_read_b128 v[1:4], v104 offset:16384
	v_fma_f64 v[125:126], v[163:164], v[125:126], v[107:108]
	s_mov_b32 s5, 0x3febb67a
	s_mov_b32 s6, s4
	v_mul_u32_u24_e32 v7, 0x3c0, v7
	v_lshlrev_b32_e32 v8, 4, v8
	s_waitcnt vmcnt(10)
	v_mul_f64 v[107:108], v[179:180], v[139:140]
	v_mul_f64 v[131:132], v[177:178], v[139:140]
	v_fma_f64 v[139:140], v[29:30], v[129:130], -v[37:38]
	ds_read_b128 v[37:40], v104 offset:18432
	s_waitcnt vmcnt(9) lgkmcnt(1)
	v_mul_f64 v[163:164], v[3:4], v[143:144]
	v_mul_f64 v[143:144], v[1:2], v[143:144]
	s_waitcnt vmcnt(8)
	v_mul_f64 v[169:170], v[27:28], v[11:12]
	v_mul_f64 v[11:12], v[25:26], v[11:12]
	v_fma_f64 v[129:130], v[31:32], v[129:130], v[105:106]
	ds_read_b128 v[29:32], v104 offset:36864
	v_fma_f64 v[171:172], v[177:178], v[137:138], -v[107:108]
	ds_read_b128 v[105:108], v104 offset:38912
	v_fma_f64 v[131:132], v[179:180], v[137:138], v[131:132]
	v_fma_f64 v[137:138], v[1:2], v[141:142], -v[163:164]
	v_fma_f64 v[141:142], v[3:4], v[141:142], v[143:144]
	v_fma_f64 v[143:144], v[25:26], v[9:10], -v[169:170]
	s_waitcnt vmcnt(7) lgkmcnt(1)
	v_mul_f64 v[25:26], v[31:32], v[151:152]
	v_mul_f64 v[151:152], v[29:30], v[151:152]
	v_fma_f64 v[163:164], v[27:28], v[9:10], v[11:12]
	s_waitcnt vmcnt(6)
	v_mul_f64 v[27:28], v[35:36], v[155:156]
	ds_read_b128 v[1:4], v104 offset:57344
	ds_read_b128 v[9:12], v104 offset:59392
	v_mul_f64 v[155:156], v[33:34], v[155:156]
	v_mul_u32_u24_e32 v5, 0x3c0, v5
	v_fma_f64 v[29:30], v[29:30], v[149:150], -v[25:26]
	s_waitcnt vmcnt(5) lgkmcnt(1)
	v_mul_f64 v[169:170], v[3:4], v[159:160]
	v_mul_f64 v[159:160], v[1:2], v[159:160]
	v_fma_f64 v[149:150], v[31:32], v[149:150], v[151:152]
	s_waitcnt vmcnt(4)
	v_mul_f64 v[25:26], v[39:40], v[167:168]
	v_fma_f64 v[151:152], v[33:34], v[153:154], -v[27:28]
	v_mul_f64 v[27:28], v[37:38], v[167:168]
	v_fma_f64 v[153:154], v[35:36], v[153:154], v[155:156]
	v_add_f64 v[33:34], v[181:182], v[189:190]
	v_fma_f64 v[155:156], v[1:2], v[157:158], -v[169:170]
	v_fma_f64 v[157:158], v[3:4], v[157:158], v[159:160]
	s_waitcnt vmcnt(3)
	v_mul_f64 v[1:2], v[135:136], v[111:112]
	v_mul_f64 v[3:4], v[133:134], v[111:112]
	v_fma_f64 v[111:112], v[37:38], v[165:166], -v[25:26]
	s_waitcnt vmcnt(2)
	v_mul_f64 v[25:26], v[107:108], v[15:16]
	v_fma_f64 v[159:160], v[39:40], v[165:166], v[27:28]
	s_waitcnt vmcnt(1)
	v_mul_f64 v[27:28], v[147:148], v[19:20]
	v_mul_f64 v[19:20], v[145:146], v[19:20]
	s_waitcnt vmcnt(0) lgkmcnt(0)
	v_mul_f64 v[31:32], v[11:12], v[23:24]
	v_mul_f64 v[23:24], v[9:10], v[23:24]
	v_fma_f64 v[1:2], v[133:134], v[109:110], -v[1:2]
	v_fma_f64 v[3:4], v[135:136], v[109:110], v[3:4]
	v_fma_f64 v[109:110], v[105:106], v[13:14], -v[25:26]
	v_add_f64 v[25:26], v[189:190], v[197:198]
	v_fma_f64 v[135:136], v[145:146], v[17:18], -v[27:28]
	v_fma_f64 v[145:146], v[147:148], v[17:18], v[19:20]
	v_fma_f64 v[147:148], v[9:10], v[21:22], -v[31:32]
	v_fma_f64 v[165:166], v[11:12], v[21:22], v[23:24]
	v_add_f64 v[21:22], v[187:188], v[195:196]
	v_add_f64 v[27:28], v[189:190], -v[197:198]
	v_mul_f64 v[15:16], v[105:106], v[15:16]
	v_fma_f64 v[23:24], v[25:26], -0.5, v[181:182]
	v_add_f64 v[25:26], v[187:188], -v[195:196]
	v_add_f64 v[17:18], v[183:184], v[191:192]
	v_add_f64 v[19:20], v[185:186], v[193:194]
	ds_read_b128 v[9:12], v104 offset:2048
	v_fma_f64 v[21:22], v[21:22], -0.5, v[50:51]
	v_add_f64 v[31:32], v[50:51], v[187:188]
	v_fma_f64 v[133:134], v[107:108], v[13:14], v[15:16]
	ds_read_b128 v[13:16], v104
	v_fma_f64 v[35:36], v[25:26], s[6:7], v[23:24]
	v_fma_f64 v[23:24], v[25:26], s[4:5], v[23:24]
	v_add_f64 v[105:106], v[185:186], -v[193:194]
	v_add_f64 v[107:108], v[183:184], -v[191:192]
	v_fma_f64 v[37:38], v[27:28], s[4:5], v[21:22]
	s_waitcnt lgkmcnt(0)
	v_fma_f64 v[17:18], v[17:18], -0.5, v[13:14]
	v_fma_f64 v[19:20], v[19:20], -0.5, v[15:16]
	v_add_f64 v[13:14], v[13:14], v[183:184]
	v_add_f64 v[15:16], v[15:16], v[185:186]
	v_fma_f64 v[21:22], v[27:28], s[6:7], v[21:22]
	v_mul_f64 v[25:26], v[35:36], s[4:5]
	v_add_f64 v[31:32], v[31:32], v[195:196]
	v_mul_f64 v[27:28], v[37:38], s[6:7]
	v_add_f64 v[33:34], v[33:34], v[197:198]
	v_mul_f64 v[169:170], v[23:24], -0.5
	v_add_f64 v[39:40], v[13:14], v[191:192]
	v_add_f64 v[50:51], v[15:16], v[193:194]
	v_mul_f64 v[167:168], v[21:22], -0.5
	v_fma_f64 v[25:26], v[37:38], 0.5, v[25:26]
	v_fma_f64 v[37:38], v[107:108], s[6:7], v[19:20]
	v_fma_f64 v[27:28], v[35:36], 0.5, v[27:28]
	v_fma_f64 v[35:36], v[105:106], s[4:5], v[17:18]
	v_fma_f64 v[105:106], v[105:106], s[6:7], v[17:18]
	v_add_f64 v[13:14], v[39:40], v[31:32]
	v_add_f64 v[15:16], v[50:51], v[33:34]
	v_fma_f64 v[107:108], v[107:108], s[4:5], v[19:20]
	v_fma_f64 v[167:168], v[23:24], s[4:5], v[167:168]
	;; [unrolled: 1-line block ×3, first 2 shown]
	v_add_f64 v[23:24], v[37:38], v[27:28]
	v_add_f64 v[21:22], v[35:36], v[25:26]
	v_add_f64 v[17:18], v[39:40], -v[31:32]
	v_mov_b32_e32 v32, 4
	v_mul_u32_u24_e32 v31, 0x3c0, v48
	v_lshlrev_b32_sdwa v48, v32, v49 dst_sel:DWORD dst_unused:UNUSED_PAD src0_sel:DWORD src1_sel:BYTE_0
	v_add3_u32 v31, 0, v31, v48
	v_add_f64 v[19:20], v[50:51], -v[33:34]
	v_add_f64 v[25:26], v[35:36], -v[25:26]
	v_add_f64 v[27:28], v[37:38], -v[27:28]
	v_add_f64 v[33:34], v[105:106], v[167:168]
	v_add_f64 v[35:36], v[107:108], v[169:170]
	v_add_f64 v[37:38], v[105:106], -v[167:168]
	v_add_f64 v[39:40], v[107:108], -v[169:170]
	ds_read_b128 v[48:51], v104 offset:4096
	ds_read_b128 v[105:108], v104 offset:6144
	s_waitcnt lgkmcnt(0)
	s_barrier
	ds_write_b128 v31, v[13:16]
	ds_write_b128 v31, v[21:24] offset:160
	v_add_f64 v[13:14], v[209:210], v[115:116]
	v_add_f64 v[15:16], v[203:204], v[173:174]
	v_add_f64 v[21:22], v[203:204], -v[173:174]
	v_add_f64 v[23:24], v[209:210], -v[115:116]
	ds_write_b128 v31, v[33:36] offset:320
	ds_write_b128 v31, v[17:20] offset:480
	;; [unrolled: 1-line block ×4, first 2 shown]
	v_add_f64 v[17:18], v[117:118], v[205:206]
	v_add_f64 v[19:20], v[119:120], v[211:212]
	v_fma_f64 v[13:14], v[13:14], -0.5, v[201:202]
	v_fma_f64 v[15:16], v[15:16], -0.5, v[199:200]
	v_add_f64 v[35:36], v[201:202], v[209:210]
	v_add_f64 v[25:26], v[9:10], v[117:118]
	;; [unrolled: 1-line block ×4, first 2 shown]
	v_fma_f64 v[17:18], v[17:18], -0.5, v[9:10]
	v_fma_f64 v[19:20], v[19:20], -0.5, v[11:12]
	v_fma_f64 v[37:38], v[21:22], s[6:7], v[13:14]
	v_fma_f64 v[39:40], v[23:24], s[4:5], v[15:16]
	v_add_f64 v[35:36], v[35:36], v[115:116]
	v_fma_f64 v[15:16], v[23:24], s[6:7], v[15:16]
	v_fma_f64 v[13:14], v[21:22], s[4:5], v[13:14]
	v_add_f64 v[115:116], v[119:120], -v[211:212]
	v_add_f64 v[117:118], v[117:118], -v[205:206]
	v_add_f64 v[25:26], v[25:26], v[205:206]
	v_mul_f64 v[21:22], v[37:38], s[4:5]
	v_mul_f64 v[23:24], v[39:40], s[6:7]
	v_add_f64 v[27:28], v[27:28], v[211:212]
	v_add_f64 v[33:34], v[33:34], v[173:174]
	v_mul_f64 v[119:120], v[15:16], -0.5
	v_mul_f64 v[167:168], v[13:14], -0.5
	v_mul_u32_u24_e32 v31, 0x3c0, v46
	v_lshlrev_b32_e32 v6, 4, v6
	v_fma_f64 v[21:22], v[39:40], 0.5, v[21:22]
	v_fma_f64 v[23:24], v[37:38], 0.5, v[23:24]
	v_fma_f64 v[37:38], v[115:116], s[4:5], v[17:18]
	v_fma_f64 v[39:40], v[117:118], s[6:7], v[19:20]
	v_add_f64 v[9:10], v[25:26], v[33:34]
	v_add_f64 v[11:12], v[27:28], v[35:36]
	v_fma_f64 v[115:116], v[115:116], s[6:7], v[17:18]
	v_fma_f64 v[117:118], v[117:118], s[4:5], v[19:20]
	;; [unrolled: 1-line block ×4, first 2 shown]
	v_add_f64 v[17:18], v[37:38], v[21:22]
	v_add_f64 v[19:20], v[39:40], v[23:24]
	v_add_f64 v[21:22], v[37:38], -v[21:22]
	v_lshlrev_b32_sdwa v37, v32, v47 dst_sel:DWORD dst_unused:UNUSED_PAD src0_sel:DWORD src1_sel:BYTE_0
	v_add3_u32 v31, 0, v31, v37
	ds_write_b128 v31, v[9:12]
	ds_write_b128 v31, v[17:20] offset:160
	v_add_f64 v[9:10], v[125:126], v[131:132]
	v_add_f64 v[11:12], v[161:162], v[171:172]
	v_add_f64 v[13:14], v[25:26], -v[33:34]
	v_add_f64 v[15:16], v[27:28], -v[35:36]
	v_add_f64 v[25:26], v[115:116], v[119:120]
	v_add_f64 v[27:28], v[117:118], v[167:168]
	v_add_f64 v[17:18], v[161:162], -v[171:172]
	v_add_f64 v[19:20], v[125:126], -v[131:132]
	v_fma_f64 v[9:10], v[9:10], -0.5, v[113:114]
	v_fma_f64 v[11:12], v[11:12], -0.5, v[123:124]
	v_add_f64 v[23:24], v[39:40], -v[23:24]
	v_add_f64 v[33:34], v[115:116], -v[119:120]
	;; [unrolled: 1-line block ×3, first 2 shown]
	ds_write_b128 v31, v[25:28] offset:320
	ds_write_b128 v31, v[13:16] offset:480
	;; [unrolled: 1-line block ×4, first 2 shown]
	v_add_f64 v[13:14], v[127:128], v[139:140]
	v_add_f64 v[15:16], v[121:122], v[129:130]
	v_fma_f64 v[33:34], v[17:18], s[6:7], v[9:10]
	v_fma_f64 v[35:36], v[19:20], s[4:5], v[11:12]
	v_add_f64 v[21:22], v[48:49], v[127:128]
	v_add_f64 v[23:24], v[50:51], v[121:122]
	;; [unrolled: 1-line block ×4, first 2 shown]
	v_fma_f64 v[13:14], v[13:14], -0.5, v[48:49]
	v_fma_f64 v[15:16], v[15:16], -0.5, v[50:51]
	v_fma_f64 v[19:20], v[19:20], s[6:7], v[11:12]
	v_fma_f64 v[17:18], v[17:18], s[4:5], v[9:10]
	v_mul_f64 v[37:38], v[33:34], s[4:5]
	v_mul_f64 v[39:40], v[35:36], s[6:7]
	v_add_f64 v[46:47], v[121:122], -v[129:130]
	v_add_f64 v[48:49], v[127:128], -v[139:140]
	v_add_f64 v[21:22], v[21:22], v[139:140]
	v_add_f64 v[23:24], v[23:24], v[129:130]
	;; [unrolled: 1-line block ×4, first 2 shown]
	v_mul_f64 v[50:51], v[19:20], -0.5
	v_mul_f64 v[113:114], v[17:18], -0.5
	v_fma_f64 v[35:36], v[35:36], 0.5, v[37:38]
	v_fma_f64 v[33:34], v[33:34], 0.5, v[39:40]
	v_fma_f64 v[37:38], v[46:47], s[4:5], v[13:14]
	v_fma_f64 v[39:40], v[48:49], s[6:7], v[15:16]
	v_add_f64 v[9:10], v[21:22], v[25:26]
	v_add_f64 v[11:12], v[23:24], v[27:28]
	v_fma_f64 v[50:51], v[17:18], s[4:5], v[50:51]
	v_fma_f64 v[113:114], v[19:20], s[6:7], v[113:114]
	;; [unrolled: 1-line block ×3, first 2 shown]
	v_add_f64 v[13:14], v[21:22], -v[25:26]
	v_add_f64 v[17:18], v[37:38], v[35:36]
	v_add_f64 v[19:20], v[39:40], v[33:34]
	v_add_f64 v[21:22], v[37:38], -v[35:36]
	v_mul_u32_u24_e32 v31, 0x3c0, v93
	v_lshlrev_b32_e32 v37, 4, v213
	v_add3_u32 v31, 0, v31, v37
	v_fma_f64 v[48:49], v[48:49], s[4:5], v[15:16]
	ds_write_b128 v31, v[9:12]
	ds_write_b128 v31, v[17:20] offset:160
	v_add_f64 v[9:10], v[149:150], v[157:158]
	v_add_f64 v[11:12], v[29:30], v[155:156]
	v_add_f64 v[15:16], v[23:24], -v[27:28]
	v_add_f64 v[25:26], v[46:47], v[50:51]
	v_add_f64 v[17:18], v[29:30], -v[155:156]
	;; [unrolled: 2-line block ×3, first 2 shown]
	v_add_f64 v[23:24], v[39:40], -v[33:34]
	v_fma_f64 v[9:10], v[9:10], -0.5, v[141:142]
	v_fma_f64 v[11:12], v[11:12], -0.5, v[137:138]
	v_add_f64 v[33:34], v[46:47], -v[50:51]
	v_add_f64 v[35:36], v[48:49], -v[113:114]
	;; [unrolled: 1-line block ×3, first 2 shown]
	ds_write_b128 v31, v[25:28] offset:320
	ds_write_b128 v31, v[13:16] offset:480
	;; [unrolled: 1-line block ×4, first 2 shown]
	v_add_f64 v[13:14], v[143:144], v[151:152]
	v_add_f64 v[15:16], v[163:164], v[153:154]
	;; [unrolled: 1-line block ×3, first 2 shown]
	v_fma_f64 v[29:30], v[17:18], s[6:7], v[9:10]
	v_fma_f64 v[33:34], v[19:20], s[4:5], v[11:12]
	v_add_f64 v[21:22], v[105:106], v[143:144]
	v_add_f64 v[23:24], v[107:108], v[163:164]
	;; [unrolled: 1-line block ×3, first 2 shown]
	v_fma_f64 v[19:20], v[19:20], s[6:7], v[11:12]
	v_fma_f64 v[17:18], v[17:18], s[4:5], v[9:10]
	v_fma_f64 v[13:14], v[13:14], -0.5, v[105:106]
	v_fma_f64 v[15:16], v[15:16], -0.5, v[107:108]
	v_mul_f64 v[35:36], v[29:30], s[4:5]
	v_mul_f64 v[37:38], v[33:34], s[6:7]
	v_add_f64 v[46:47], v[143:144], -v[151:152]
	v_add_f64 v[21:22], v[21:22], v[151:152]
	v_add_f64 v[23:24], v[23:24], v[153:154]
	;; [unrolled: 1-line block ×4, first 2 shown]
	v_mul_f64 v[48:49], v[19:20], -0.5
	v_mul_f64 v[50:51], v[17:18], -0.5
	v_fma_f64 v[33:34], v[33:34], 0.5, v[35:36]
	v_fma_f64 v[29:30], v[29:30], 0.5, v[37:38]
	v_fma_f64 v[35:36], v[39:40], s[4:5], v[13:14]
	v_fma_f64 v[37:38], v[46:47], s[6:7], v[15:16]
	v_add_f64 v[9:10], v[21:22], v[25:26]
	v_add_f64 v[11:12], v[23:24], v[27:28]
	v_fma_f64 v[39:40], v[39:40], s[6:7], v[13:14]
	v_fma_f64 v[46:47], v[46:47], s[4:5], v[15:16]
	;; [unrolled: 1-line block ×4, first 2 shown]
	v_add_f64 v[17:18], v[35:36], v[33:34]
	v_add_f64 v[19:20], v[37:38], v[29:30]
	v_add_f64 v[15:16], v[23:24], -v[27:28]
	v_add_f64 v[23:24], v[37:38], -v[29:30]
	v_add3_u32 v29, 0, v7, v8
	v_add_f64 v[13:14], v[21:22], -v[25:26]
	v_add_f64 v[25:26], v[39:40], v[48:49]
	v_add_f64 v[27:28], v[46:47], v[50:51]
	ds_write_b128 v29, v[9:12]
	ds_write_b128 v29, v[17:20] offset:160
	v_add_f64 v[7:8], v[133:134], v[165:166]
	v_add_f64 v[9:10], v[109:110], v[147:148]
	v_add_f64 v[21:22], v[35:36], -v[33:34]
	v_add_f64 v[33:34], v[39:40], -v[48:49]
	v_add_f64 v[35:36], v[46:47], -v[50:51]
	v_add_f64 v[17:18], v[133:134], -v[165:166]
	ds_write_b128 v29, v[25:28] offset:320
	ds_write_b128 v29, v[13:16] offset:480
	;; [unrolled: 1-line block ×4, first 2 shown]
	v_fma_f64 v[7:8], v[7:8], -0.5, v[159:160]
	v_add_f64 v[15:16], v[109:110], -v[147:148]
	v_fma_f64 v[9:10], v[9:10], -0.5, v[111:112]
	v_add_f64 v[11:12], v[1:2], v[135:136]
	v_add_f64 v[13:14], v[3:4], v[145:146]
	;; [unrolled: 1-line block ×6, first 2 shown]
	v_fma_f64 v[27:28], v[15:16], s[6:7], v[7:8]
	v_fma_f64 v[29:30], v[17:18], s[4:5], v[9:10]
	;; [unrolled: 1-line block ×4, first 2 shown]
	v_fma_f64 v[11:12], v[11:12], -0.5, v[41:42]
	v_fma_f64 v[13:14], v[13:14], -0.5, v[43:44]
	v_add_f64 v[33:34], v[3:4], -v[145:146]
	v_add_f64 v[35:36], v[1:2], -v[135:136]
	v_mul_f64 v[15:16], v[27:28], s[4:5]
	v_mul_f64 v[17:18], v[29:30], s[6:7]
	v_mul_f64 v[37:38], v[9:10], -0.5
	v_mul_f64 v[39:40], v[7:8], -0.5
	v_add_f64 v[19:20], v[19:20], v[135:136]
	v_add_f64 v[21:22], v[21:22], v[145:146]
	v_add_f64 v[23:24], v[23:24], v[147:148]
	v_add_f64 v[25:26], v[25:26], v[165:166]
	v_fma_f64 v[15:16], v[29:30], 0.5, v[15:16]
	v_fma_f64 v[17:18], v[27:28], 0.5, v[17:18]
	v_fma_f64 v[27:28], v[33:34], s[4:5], v[11:12]
	v_fma_f64 v[29:30], v[35:36], s[6:7], v[13:14]
	;; [unrolled: 1-line block ×6, first 2 shown]
	v_add_f64 v[1:2], v[19:20], v[23:24]
	v_add_f64 v[3:4], v[21:22], v[25:26]
	;; [unrolled: 1-line block ×4, first 2 shown]
	v_add_f64 v[7:8], v[19:20], -v[23:24]
	v_add_f64 v[9:10], v[21:22], -v[25:26]
	v_add_f64 v[19:20], v[33:34], v[37:38]
	v_add_f64 v[21:22], v[35:36], v[39:40]
	v_add_f64 v[15:16], v[27:28], -v[15:16]
	v_add_f64 v[17:18], v[29:30], -v[17:18]
	v_add_f64 v[23:24], v[33:34], -v[37:38]
	v_add_f64 v[25:26], v[35:36], -v[39:40]
	v_add3_u32 v5, 0, v5, v6
	s_movk_i32 s4, 0x89
	ds_write_b128 v5, v[1:4]
	ds_write_b128 v5, v[11:14] offset:160
	ds_write_b128 v5, v[19:22] offset:320
	;; [unrolled: 1-line block ×5, first 2 shown]
	v_mul_lo_u16_sdwa v1, v57, s4 dst_sel:DWORD dst_unused:UNUSED_PAD src0_sel:BYTE_0 src1_sel:DWORD
	v_lshrrev_b16_e32 v42, 13, v1
	v_mul_lo_u16_e32 v1, 60, v42
	v_mul_lo_u16_sdwa v33, v45, s4 dst_sel:DWORD dst_unused:UNUSED_PAD src0_sel:BYTE_0 src1_sel:DWORD
	s_mov_b32 s4, 0x8889
	v_sub_u16_e32 v1, v57, v1
	v_lshrrev_b16_e32 v19, 13, v33
	v_mul_u32_u24_sdwa v34, v102, s4 dst_sel:DWORD dst_unused:UNUSED_PAD src0_sel:WORD_0 src1_sel:DWORD
	v_lshlrev_b32_sdwa v43, v32, v1 dst_sel:DWORD dst_unused:UNUSED_PAD src0_sel:DWORD src1_sel:BYTE_0
	v_mul_lo_u16_e32 v1, 60, v19
	v_lshrrev_b32_e32 v36, 21, v34
	v_sub_u16_e32 v1, v45, v1
	v_mul_lo_u16_e32 v9, 60, v36
	v_mul_u32_u24_sdwa v28, v82, s4 dst_sel:DWORD dst_unused:UNUSED_PAD src0_sel:WORD_0 src1_sel:DWORD
	s_waitcnt lgkmcnt(0)
	s_barrier
	v_lshlrev_b32_sdwa v17, v32, v1 dst_sel:DWORD dst_unused:UNUSED_PAD src0_sel:DWORD src1_sel:BYTE_0
	global_load_dwordx4 v[5:8], v43, s[12:13] offset:800
	global_load_dwordx4 v[1:4], v17, s[12:13] offset:800
	v_sub_u16_e32 v9, v102, v9
	v_lshrrev_b32_e32 v38, 21, v28
	v_lshlrev_b32_e32 v37, 4, v9
	v_mul_lo_u16_e32 v9, 60, v38
	v_sub_u16_e32 v9, v82, v9
	v_lshlrev_b32_e32 v18, 4, v9
	global_load_dwordx4 v[13:16], v37, s[12:13] offset:800
	global_load_dwordx4 v[9:12], v18, s[12:13] offset:800
	v_mul_u32_u24_sdwa v29, v98, s4 dst_sel:DWORD dst_unused:UNUSED_PAD src0_sel:WORD_0 src1_sel:DWORD
	v_lshrrev_b32_e32 v39, 21, v29
	v_mul_lo_u16_e32 v20, 60, v39
	v_mul_u32_u24_sdwa v30, v99, s4 dst_sel:DWORD dst_unused:UNUSED_PAD src0_sel:WORD_0 src1_sel:DWORD
	v_sub_u16_e32 v20, v98, v20
	v_lshrrev_b32_e32 v40, 21, v30
	v_lshlrev_b32_e32 v35, 4, v20
	v_mul_lo_u16_e32 v20, 60, v40
	v_mul_u32_u24_sdwa v31, v100, s4 dst_sel:DWORD dst_unused:UNUSED_PAD src0_sel:WORD_0 src1_sel:DWORD
	v_sub_u16_e32 v20, v99, v20
	v_lshrrev_b32_e32 v46, 21, v31
	v_lshlrev_b32_e32 v41, 4, v20
	v_mul_lo_u16_e32 v20, 60, v46
	v_sub_u16_e32 v20, v100, v20
	global_load_dwordx4 v[113:116], v35, s[12:13] offset:800
	global_load_dwordx4 v[117:120], v41, s[12:13] offset:800
	v_lshlrev_b32_e32 v47, 4, v20
	v_mul_u32_u24_e32 v27, 0x445, v103
	v_mov_b32_e32 v20, 60
	v_mul_lo_u16_sdwa v20, v27, v20 dst_sel:DWORD dst_unused:UNUSED_PAD src0_sel:WORD_1 src1_sel:DWORD
	v_sub_u16_e32 v20, v103, v20
	v_lshlrev_b32_e32 v48, 4, v20
	global_load_dwordx4 v[121:124], v47, s[12:13] offset:800
	global_load_dwordx4 v[125:128], v48, s[12:13] offset:800
	v_mul_u32_u24_sdwa v26, v86, s4 dst_sel:DWORD dst_unused:UNUSED_PAD src0_sel:WORD_0 src1_sel:DWORD
	v_lshrrev_b32_e32 v49, 21, v26
	v_mul_lo_u16_e32 v20, 60, v49
	v_mul_u32_u24_sdwa v25, v87, s4 dst_sel:DWORD dst_unused:UNUSED_PAD src0_sel:WORD_0 src1_sel:DWORD
	v_sub_u16_e32 v20, v86, v20
	v_lshrrev_b32_e32 v106, 21, v25
	v_lshlrev_b32_e32 v52, 4, v20
	v_mul_lo_u16_e32 v20, 60, v106
	v_mul_u32_u24_sdwa v24, v88, s4 dst_sel:DWORD dst_unused:UNUSED_PAD src0_sel:WORD_0 src1_sel:DWORD
	v_sub_u16_e32 v20, v87, v20
	v_lshrrev_b32_e32 v93, 21, v24
	v_lshlrev_b32_e32 v44, 4, v20
	global_load_dwordx4 v[129:132], v52, s[12:13] offset:800
	global_load_dwordx4 v[133:136], v44, s[12:13] offset:800
	v_mul_lo_u16_e32 v20, 60, v93
	v_sub_u16_e32 v20, v88, v20
	v_lshlrev_b32_e32 v105, 4, v20
	v_mul_u32_u24_sdwa v20, v89, s4 dst_sel:DWORD dst_unused:UNUSED_PAD src0_sel:WORD_0 src1_sel:DWORD
	v_lshrrev_b32_e32 v107, 21, v20
	v_mul_lo_u16_e32 v21, 60, v107
	v_sub_u16_e32 v21, v89, v21
	global_load_dwordx4 v[137:140], v105, s[12:13] offset:800
	v_lshlrev_b32_e32 v108, 4, v21
	global_load_dwordx4 v[141:144], v108, s[12:13] offset:800
	v_mul_u32_u24_sdwa v23, v90, s4 dst_sel:DWORD dst_unused:UNUSED_PAD src0_sel:WORD_0 src1_sel:DWORD
	v_lshrrev_b32_e32 v50, 21, v23
	v_mul_lo_u16_e32 v21, 60, v50
	v_mul_u32_u24_sdwa v22, v91, s4 dst_sel:DWORD dst_unused:UNUSED_PAD src0_sel:WORD_0 src1_sel:DWORD
	v_sub_u16_e32 v21, v90, v21
	v_lshrrev_b32_e32 v109, 21, v22
	v_lshlrev_b32_e32 v51, 4, v21
	v_mul_lo_u16_e32 v21, 60, v109
	v_sub_u16_e32 v21, v91, v21
	v_lshlrev_b32_e32 v110, 4, v21
	v_mul_u32_u24_sdwa v21, v92, s4 dst_sel:DWORD dst_unused:UNUSED_PAD src0_sel:WORD_0 src1_sel:DWORD
	v_lshrrev_b32_e32 v111, 21, v21
	v_mul_lo_u16_e32 v112, 60, v111
	v_sub_u16_e32 v112, v92, v112
	global_load_dwordx4 v[145:148], v51, s[12:13] offset:800
	global_load_dwordx4 v[149:152], v110, s[12:13] offset:800
	v_lshlrev_b32_e32 v112, 4, v112
	global_load_dwordx4 v[153:156], v112, s[12:13] offset:800
	ds_read_b128 v[157:160], v104 offset:30720
	ds_read_b128 v[161:164], v104 offset:32768
	ds_read_b128 v[165:168], v83
	ds_read_b128 v[169:172], v104 offset:34816
	ds_read_b128 v[173:176], v104 offset:36864
	;; [unrolled: 1-line block ×3, first 2 shown]
	v_mul_u32_u24_e32 v19, 0x780, v19
	v_add3_u32 v17, 0, v19, v17
	s_movk_i32 s4, 0x780
	v_lshrrev_b16_e32 v33, 14, v33
	v_mov_b32_e32 v19, s13
	s_waitcnt vmcnt(14) lgkmcnt(5)
	v_mul_f64 v[181:182], v[159:160], v[7:8]
	s_waitcnt vmcnt(13) lgkmcnt(4)
	v_mul_f64 v[183:184], v[163:164], v[3:4]
	v_mul_f64 v[3:4], v[161:162], v[3:4]
	;; [unrolled: 1-line block ×3, first 2 shown]
	v_lshrrev_b32_e32 v34, 22, v34
	s_movk_i32 s5, 0x2000
	s_waitcnt vmcnt(12) lgkmcnt(2)
	v_mul_f64 v[185:186], v[171:172], v[15:16]
	s_waitcnt vmcnt(11) lgkmcnt(1)
	v_mul_f64 v[187:188], v[175:176], v[11:12]
	v_mul_f64 v[11:12], v[173:174], v[11:12]
	;; [unrolled: 1-line block ×3, first 2 shown]
	v_fma_f64 v[161:162], v[161:162], v[1:2], -v[183:184]
	v_fma_f64 v[163:164], v[163:164], v[1:2], v[3:4]
	ds_read_b128 v[1:4], v104 offset:40960
	v_fma_f64 v[157:158], v[157:158], v[5:6], -v[181:182]
	v_fma_f64 v[159:160], v[159:160], v[5:6], v[7:8]
	ds_read_b128 v[5:8], v104 offset:43008
	;; [unrolled: 3-line block ×3, first 2 shown]
	v_fma_f64 v[169:170], v[169:170], v[13:14], -v[185:186]
	v_fma_f64 v[171:172], v[171:172], v[13:14], v[15:16]
	s_waitcnt vmcnt(10) lgkmcnt(3)
	v_mul_f64 v[181:182], v[179:180], v[115:116]
	s_waitcnt vmcnt(9) lgkmcnt(2)
	v_mul_f64 v[183:184], v[3:4], v[119:120]
	v_mul_f64 v[119:120], v[1:2], v[119:120]
	ds_read_b128 v[13:16], v104 offset:47104
	v_mul_f64 v[115:116], v[177:178], v[115:116]
	s_waitcnt vmcnt(8) lgkmcnt(2)
	v_mul_f64 v[185:186], v[7:8], v[123:124]
	v_mul_f64 v[123:124], v[5:6], v[123:124]
	s_waitcnt vmcnt(7) lgkmcnt(1)
	v_mul_f64 v[187:188], v[11:12], v[127:128]
	v_mul_f64 v[127:128], v[9:10], v[127:128]
	v_fma_f64 v[177:178], v[177:178], v[113:114], -v[181:182]
	v_fma_f64 v[181:182], v[1:2], v[117:118], -v[183:184]
	v_fma_f64 v[183:184], v[3:4], v[117:118], v[119:120]
	ds_read_b128 v[1:4], v104 offset:49152
	v_fma_f64 v[185:186], v[5:6], v[121:122], -v[185:186]
	v_fma_f64 v[189:190], v[7:8], v[121:122], v[123:124]
	ds_read_b128 v[5:8], v104 offset:51200
	;; [unrolled: 3-line block ×3, first 2 shown]
	s_waitcnt vmcnt(6) lgkmcnt(3)
	v_mul_f64 v[117:118], v[15:16], v[131:132]
	s_waitcnt vmcnt(5) lgkmcnt(2)
	v_mul_f64 v[121:122], v[3:4], v[135:136]
	v_mul_f64 v[123:124], v[1:2], v[135:136]
	;; [unrolled: 1-line block ×3, first 2 shown]
	v_fma_f64 v[179:180], v[179:180], v[113:114], v[115:116]
	ds_read_b128 v[113:116], v104 offset:55296
	s_waitcnt vmcnt(4) lgkmcnt(2)
	v_mul_f64 v[125:126], v[7:8], v[139:140]
	v_mul_f64 v[127:128], v[5:6], v[139:140]
	s_waitcnt vmcnt(3) lgkmcnt(1)
	v_mul_f64 v[131:132], v[11:12], v[143:144]
	v_fma_f64 v[193:194], v[13:14], v[129:130], -v[117:118]
	v_mul_f64 v[13:14], v[9:10], v[143:144]
	v_fma_f64 v[197:198], v[1:2], v[133:134], -v[121:122]
	v_fma_f64 v[199:200], v[3:4], v[133:134], v[123:124]
	ds_read_b128 v[1:4], v104 offset:57344
	v_fma_f64 v[201:202], v[5:6], v[137:138], -v[125:126]
	v_fma_f64 v[203:204], v[7:8], v[137:138], v[127:128]
	ds_read_b128 v[5:8], v104 offset:59392
	v_fma_f64 v[205:206], v[9:10], v[141:142], -v[131:132]
	v_fma_f64 v[207:208], v[11:12], v[141:142], v[13:14]
	ds_read_b128 v[9:12], v104
	v_fma_f64 v[195:196], v[15:16], v[129:130], v[119:120]
	ds_read_b128 v[13:16], v104 offset:2048
	s_waitcnt vmcnt(2) lgkmcnt(4)
	v_mul_f64 v[121:122], v[115:116], v[147:148]
	s_waitcnt vmcnt(1) lgkmcnt(3)
	v_mul_f64 v[125:126], v[3:4], v[151:152]
	v_mul_f64 v[127:128], v[1:2], v[151:152]
	s_waitcnt vmcnt(0) lgkmcnt(2)
	v_mul_f64 v[129:130], v[7:8], v[155:156]
	v_mul_f64 v[123:124], v[113:114], v[147:148]
	;; [unrolled: 1-line block ×3, first 2 shown]
	s_waitcnt lgkmcnt(1)
	v_add_f64 v[117:118], v[9:10], -v[157:158]
	v_add_f64 v[119:120], v[11:12], -v[159:160]
	s_waitcnt lgkmcnt(0)
	v_add_f64 v[151:152], v[15:16], -v[163:164]
	v_fma_f64 v[213:214], v[1:2], v[149:150], -v[125:126]
	v_fma_f64 v[215:216], v[3:4], v[149:150], v[127:128]
	v_add_f64 v[149:150], v[13:14], -v[161:162]
	v_fma_f64 v[217:218], v[5:6], v[153:154], -v[129:130]
	v_mul_u32_u24_e32 v5, 0x780, v42
	v_fma_f64 v[209:210], v[113:114], v[145:146], -v[121:122]
	v_fma_f64 v[211:212], v[115:116], v[145:146], v[123:124]
	v_fma_f64 v[219:220], v[7:8], v[153:154], v[131:132]
	v_fma_f64 v[1:2], v[9:10], 2.0, -v[117:118]
	v_fma_f64 v[3:4], v[11:12], 2.0, -v[119:120]
	v_add3_u32 v42, 0, v5, v43
	ds_read_b128 v[5:8], v104 offset:4096
	ds_read_b128 v[9:12], v104 offset:6144
	;; [unrolled: 1-line block ×10, first 2 shown]
	s_waitcnt lgkmcnt(9)
	v_add_f64 v[161:162], v[5:6], -v[169:170]
	v_add_f64 v[163:164], v[7:8], -v[171:172]
	v_fma_f64 v[13:14], v[13:14], 2.0, -v[149:150]
	v_fma_f64 v[15:16], v[15:16], 2.0, -v[151:152]
	ds_read_b128 v[153:156], v104 offset:26624
	ds_read_b128 v[157:160], v104 offset:28672
	s_waitcnt lgkmcnt(0)
	s_barrier
	ds_write_b128 v42, v[1:4]
	ds_write_b128 v42, v[117:120] offset:960
	v_fma_f64 v[1:2], v[5:6], 2.0, -v[161:162]
	v_fma_f64 v[3:4], v[7:8], 2.0, -v[163:164]
	v_add_f64 v[5:6], v[9:10], -v[173:174]
	v_add_f64 v[7:8], v[11:12], -v[175:176]
	ds_write_b128 v17, v[13:16]
	v_mul_u32_u24_e32 v13, 0x780, v36
	ds_write_b128 v17, v[149:152] offset:960
	v_add3_u32 v17, 0, v13, v37
	v_add_f64 v[13:14], v[113:114], -v[177:178]
	v_add_f64 v[15:16], v[115:116], -v[179:180]
	ds_write_b128 v17, v[1:4]
	v_fma_f64 v[1:2], v[9:10], 2.0, -v[5:6]
	v_fma_f64 v[3:4], v[11:12], 2.0, -v[7:8]
	v_add_f64 v[9:10], v[121:122], -v[181:182]
	v_add_f64 v[11:12], v[123:124], -v[183:184]
	ds_write_b128 v17, v[161:164] offset:960
	v_mul_u32_u24_e32 v17, 0x780, v38
	v_add3_u32 v17, 0, v17, v18
	v_fma_f64 v[113:114], v[113:114], 2.0, -v[13:14]
	v_fma_f64 v[115:116], v[115:116], 2.0, -v[15:16]
	ds_write_b128 v17, v[1:4]
	ds_write_b128 v17, v[5:8] offset:960
	v_mul_u32_u24_e32 v7, 0x780, v39
	v_fma_f64 v[1:2], v[121:122], 2.0, -v[9:10]
	v_fma_f64 v[3:4], v[123:124], 2.0, -v[11:12]
	v_add_f64 v[5:6], v[125:126], -v[185:186]
	v_add3_u32 v17, 0, v7, v35
	v_add_f64 v[7:8], v[127:128], -v[189:190]
	ds_write_b128 v17, v[13:16] offset:960
	v_mul_u32_u24_e32 v13, 0x780, v40
	ds_write_b128 v17, v[113:116]
	v_add3_u32 v17, 0, v13, v41
	v_add_f64 v[13:14], v[165:166], -v[187:188]
	v_add_f64 v[15:16], v[167:168], -v[191:192]
	ds_write_b128 v17, v[9:12] offset:960
	v_mul_u32_u24_e32 v9, 0x780, v46
	ds_write_b128 v17, v[1:4]
	v_fma_f64 v[1:2], v[125:126], 2.0, -v[5:6]
	v_fma_f64 v[3:4], v[127:128], 2.0, -v[7:8]
	v_add3_u32 v17, 0, v9, v47
	v_add_f64 v[9:10], v[129:130], -v[193:194]
	v_add_f64 v[11:12], v[131:132], -v[195:196]
	v_fma_f64 v[35:36], v[165:166], 2.0, -v[13:14]
	v_fma_f64 v[37:38], v[167:168], 2.0, -v[15:16]
	ds_write_b128 v17, v[1:4]
	ds_write_b128 v17, v[5:8] offset:960
	v_mul_u32_u24_sdwa v5, v27, s4 dst_sel:DWORD dst_unused:UNUSED_PAD src0_sel:WORD_1 src1_sel:DWORD
	v_fma_f64 v[1:2], v[129:130], 2.0, -v[9:10]
	v_fma_f64 v[3:4], v[131:132], 2.0, -v[11:12]
	v_add3_u32 v17, 0, v5, v48
	v_add_f64 v[5:6], v[133:134], -v[197:198]
	v_add_f64 v[7:8], v[135:136], -v[199:200]
	ds_write_b128 v17, v[13:16] offset:960
	v_mul_u32_u24_e32 v13, 0x780, v49
	ds_write_b128 v17, v[35:38]
	v_add3_u32 v17, 0, v13, v52
	ds_write_b128 v17, v[1:4]
	v_add_f64 v[1:2], v[137:138], -v[201:202]
	v_add_f64 v[3:4], v[139:140], -v[203:204]
	v_fma_f64 v[13:14], v[133:134], 2.0, -v[5:6]
	v_fma_f64 v[15:16], v[135:136], 2.0, -v[7:8]
	ds_write_b128 v17, v[9:12] offset:960
	v_add_f64 v[9:10], v[141:142], -v[205:206]
	v_add_f64 v[11:12], v[143:144], -v[207:208]
	v_mul_u32_u24_e32 v17, 0x780, v106
	v_fma_f64 v[35:36], v[137:138], 2.0, -v[1:2]
	v_fma_f64 v[37:38], v[139:140], 2.0, -v[3:4]
	v_add3_u32 v17, 0, v17, v44
	ds_write_b128 v17, v[13:16]
	ds_write_b128 v17, v[5:8] offset:960
	v_mul_u32_u24_e32 v13, 0x780, v93
	v_fma_f64 v[5:6], v[141:142], 2.0, -v[9:10]
	v_fma_f64 v[7:8], v[143:144], 2.0, -v[11:12]
	v_add3_u32 v17, 0, v13, v105
	v_add_f64 v[13:14], v[145:146], -v[209:210]
	v_add_f64 v[15:16], v[147:148], -v[211:212]
	ds_write_b128 v17, v[1:4] offset:960
	v_mul_u32_u24_e32 v1, 0x780, v107
	ds_write_b128 v17, v[35:38]
	v_add3_u32 v17, 0, v1, v108
	v_add_f64 v[1:2], v[153:154], -v[213:214]
	v_add_f64 v[3:4], v[155:156], -v[215:216]
	ds_write_b128 v17, v[5:8]
	v_fma_f64 v[5:6], v[145:146], 2.0, -v[13:14]
	v_fma_f64 v[7:8], v[147:148], 2.0, -v[15:16]
	v_add_f64 v[35:36], v[157:158], -v[217:218]
	v_add_f64 v[37:38], v[159:160], -v[219:220]
	ds_write_b128 v17, v[9:12] offset:960
	v_mul_u32_u24_e32 v17, 0x780, v50
	v_fma_f64 v[9:10], v[153:154], 2.0, -v[1:2]
	v_fma_f64 v[11:12], v[155:156], 2.0, -v[3:4]
	v_add3_u32 v17, 0, v17, v51
	ds_write_b128 v17, v[5:8]
	v_fma_f64 v[5:6], v[157:158], 2.0, -v[35:36]
	v_fma_f64 v[7:8], v[159:160], 2.0, -v[37:38]
	ds_write_b128 v17, v[13:16] offset:960
	v_mul_u32_u24_e32 v13, 0x780, v109
	v_add3_u32 v13, 0, v13, v110
	ds_write_b128 v13, v[9:12]
	ds_write_b128 v13, v[1:4] offset:960
	v_mul_u32_u24_e32 v1, 0x780, v111
	v_add3_u32 v1, 0, v1, v112
	s_movk_i32 s4, 0x78
	ds_write_b128 v1, v[5:8]
	ds_write_b128 v1, v[35:38] offset:960
	v_add_u32_e32 v1, 0xffffff88, v57
	v_cmp_gt_u32_e32 vcc, s4, v57
	v_cndmask_b32_e32 v17, v1, v57, vcc
	v_mov_b32_e32 v18, v58
	v_lshlrev_b64 v[1:2], 4, v[17:18]
	v_mul_lo_u16_e32 v3, 0x78, v33
	v_add_co_u32_e32 v1, vcc, s12, v1
	v_addc_co_u32_e32 v2, vcc, v19, v2, vcc
	v_sub_u16_e32 v3, v45, v3
	s_waitcnt lgkmcnt(0)
	s_barrier
	v_lshlrev_b32_sdwa v32, v32, v3 dst_sel:DWORD dst_unused:UNUSED_PAD src0_sel:DWORD src1_sel:BYTE_0
	global_load_dwordx4 v[5:8], v[1:2], off offset:1760
	s_nop 0
	global_load_dwordx4 v[1:4], v32, s[12:13] offset:1760
	v_mul_lo_u16_e32 v9, 0x78, v34
	v_sub_u16_e32 v9, v102, v9
	v_lshlrev_b32_e32 v36, 4, v9
	global_load_dwordx4 v[9:12], v36, s[12:13] offset:1760
	v_lshrrev_b32_e32 v35, 22, v28
	v_mul_lo_u16_e32 v13, 0x78, v35
	v_sub_u16_e32 v13, v82, v13
	v_lshlrev_b32_e32 v18, 4, v13
	global_load_dwordx4 v[13:16], v18, s[12:13] offset:1760
	v_lshrrev_b32_e32 v37, 22, v29
	v_mul_lo_u16_e32 v38, 0x78, v37
	v_lshrrev_b32_e32 v39, 22, v30
	v_lshrrev_b32_e32 v44, 22, v31
	v_sub_u16_e32 v38, v98, v38
	v_mul_lo_u16_e32 v40, 0x78, v39
	v_mul_lo_u16_e32 v41, 0x78, v44
	v_lshlrev_b32_e32 v38, 4, v38
	v_sub_u16_e32 v40, v99, v40
	v_sub_u16_e32 v41, v100, v41
	v_lshrrev_b32_e32 v48, 17, v27
	v_lshlrev_b32_e32 v40, 4, v40
	global_load_dwordx4 v[110:113], v38, s[12:13] offset:1760
	global_load_dwordx4 v[114:117], v40, s[12:13] offset:1760
	v_lshlrev_b32_e32 v41, 4, v41
	v_mul_lo_u16_e32 v42, 0x78, v48
	global_load_dwordx4 v[118:121], v41, s[12:13] offset:1760
	v_sub_u16_e32 v42, v103, v42
	v_lshlrev_b32_e32 v50, 4, v42
	global_load_dwordx4 v[122:125], v50, s[12:13] offset:1760
	v_lshrrev_b32_e32 v49, 22, v26
	v_mul_lo_u16_e32 v42, 0x78, v49
	v_sub_u16_e32 v42, v86, v42
	v_lshlrev_b32_e32 v51, 4, v42
	v_lshrrev_b32_e32 v42, 22, v25
	v_mul_lo_u16_e32 v43, 0x78, v42
	v_sub_u16_e32 v43, v87, v43
	v_lshlrev_b32_e32 v43, 4, v43
	global_load_dwordx4 v[126:129], v51, s[12:13] offset:1760
	global_load_dwordx4 v[130:133], v43, s[12:13] offset:1760
	v_lshrrev_b32_e32 v52, 22, v24
	v_mul_lo_u16_e32 v46, 0x78, v52
	v_sub_u16_e32 v46, v88, v46
	v_lshrrev_b32_e32 v102, 22, v20
	v_lshlrev_b32_e32 v93, 4, v46
	v_mul_lo_u16_e32 v46, 0x78, v102
	global_load_dwordx4 v[134:137], v93, s[12:13] offset:1760
	v_sub_u16_e32 v46, v89, v46
	v_lshlrev_b32_e32 v106, 4, v46
	global_load_dwordx4 v[138:141], v106, s[12:13] offset:1760
	v_lshrrev_b32_e32 v46, 22, v23
	v_lshrrev_b32_e32 v108, 22, v21
	v_mul_lo_u16_e32 v47, 0x78, v46
	v_lshrrev_b32_e32 v105, 22, v22
	v_mul_lo_u16_e32 v109, 0x78, v108
	v_sub_u16_e32 v47, v90, v47
	v_mul_lo_u16_e32 v107, 0x78, v105
	v_sub_u16_e32 v109, v92, v109
	v_lshlrev_b32_e32 v47, 4, v47
	v_sub_u16_e32 v107, v91, v107
	v_lshlrev_b32_e32 v109, 4, v109
	v_lshlrev_b32_e32 v107, 4, v107
	global_load_dwordx4 v[142:145], v47, s[12:13] offset:1760
	global_load_dwordx4 v[146:149], v107, s[12:13] offset:1760
	;; [unrolled: 1-line block ×3, first 2 shown]
	ds_read_b128 v[154:157], v104 offset:30720
	ds_read_b128 v[158:161], v104 offset:32768
	ds_read_b128 v[162:165], v83
	ds_read_b128 v[166:169], v104 offset:34816
	ds_read_b128 v[170:173], v104 offset:36864
	;; [unrolled: 1-line block ×3, first 2 shown]
	s_movk_i32 s4, 0x77
	v_cmp_lt_u32_e32 vcc, s4, v57
	s_movk_i32 s4, 0xf0
	s_waitcnt vmcnt(14) lgkmcnt(5)
	v_mul_f64 v[178:179], v[156:157], v[7:8]
	s_waitcnt vmcnt(13) lgkmcnt(4)
	v_mul_f64 v[180:181], v[160:161], v[3:4]
	v_mul_f64 v[3:4], v[158:159], v[3:4]
	;; [unrolled: 1-line block ×3, first 2 shown]
	s_waitcnt vmcnt(12) lgkmcnt(2)
	v_mul_f64 v[182:183], v[168:169], v[11:12]
	v_mul_f64 v[11:12], v[166:167], v[11:12]
	v_fma_f64 v[154:155], v[154:155], v[5:6], -v[178:179]
	v_fma_f64 v[158:159], v[158:159], v[1:2], -v[180:181]
	s_waitcnt vmcnt(11) lgkmcnt(1)
	v_mul_f64 v[184:185], v[172:173], v[15:16]
	v_mul_f64 v[15:16], v[170:171], v[15:16]
	v_fma_f64 v[160:161], v[160:161], v[1:2], v[3:4]
	ds_read_b128 v[1:4], v104 offset:40960
	v_fma_f64 v[156:157], v[156:157], v[5:6], v[7:8]
	ds_read_b128 v[5:8], v104 offset:43008
	v_fma_f64 v[166:167], v[166:167], v[9:10], -v[182:183]
	v_fma_f64 v[168:169], v[168:169], v[9:10], v[11:12]
	ds_read_b128 v[9:12], v104 offset:45056
	v_fma_f64 v[170:171], v[170:171], v[13:14], -v[184:185]
	v_fma_f64 v[172:173], v[172:173], v[13:14], v[15:16]
	ds_read_b128 v[13:16], v104 offset:47104
	s_waitcnt vmcnt(10) lgkmcnt(4)
	v_mul_f64 v[178:179], v[176:177], v[112:113]
	s_waitcnt vmcnt(9) lgkmcnt(3)
	v_mul_f64 v[180:181], v[3:4], v[116:117]
	v_mul_f64 v[116:117], v[1:2], v[116:117]
	;; [unrolled: 1-line block ×3, first 2 shown]
	s_waitcnt vmcnt(8) lgkmcnt(2)
	v_mul_f64 v[182:183], v[7:8], v[120:121]
	v_mul_f64 v[120:121], v[5:6], v[120:121]
	s_waitcnt vmcnt(7) lgkmcnt(1)
	v_mul_f64 v[184:185], v[11:12], v[124:125]
	v_mul_f64 v[124:125], v[9:10], v[124:125]
	v_fma_f64 v[174:175], v[174:175], v[110:111], -v[178:179]
	v_fma_f64 v[178:179], v[1:2], v[114:115], -v[180:181]
	v_fma_f64 v[180:181], v[3:4], v[114:115], v[116:117]
	ds_read_b128 v[1:4], v104 offset:49152
	v_fma_f64 v[182:183], v[5:6], v[118:119], -v[182:183]
	v_fma_f64 v[186:187], v[7:8], v[118:119], v[120:121]
	s_waitcnt vmcnt(6) lgkmcnt(1)
	v_mul_f64 v[114:115], v[15:16], v[128:129]
	ds_read_b128 v[5:8], v104 offset:51200
	v_fma_f64 v[184:185], v[9:10], v[122:123], -v[184:185]
	v_fma_f64 v[188:189], v[11:12], v[122:123], v[124:125]
	ds_read_b128 v[9:12], v104 offset:53248
	s_waitcnt vmcnt(5) lgkmcnt(2)
	v_mul_f64 v[118:119], v[3:4], v[132:133]
	v_mul_f64 v[120:121], v[1:2], v[132:133]
	;; [unrolled: 1-line block ×3, first 2 shown]
	s_waitcnt vmcnt(4) lgkmcnt(1)
	v_mul_f64 v[122:123], v[7:8], v[136:137]
	v_mul_f64 v[124:125], v[5:6], v[136:137]
	v_fma_f64 v[190:191], v[13:14], v[126:127], -v[114:115]
	s_waitcnt vmcnt(3) lgkmcnt(0)
	v_mul_f64 v[128:129], v[11:12], v[140:141]
	v_mul_f64 v[13:14], v[9:10], v[140:141]
	v_fma_f64 v[176:177], v[176:177], v[110:111], v[112:113]
	ds_read_b128 v[110:113], v104 offset:55296
	v_fma_f64 v[194:195], v[1:2], v[130:131], -v[118:119]
	v_fma_f64 v[196:197], v[3:4], v[130:131], v[120:121]
	ds_read_b128 v[1:4], v104 offset:57344
	v_fma_f64 v[198:199], v[5:6], v[134:135], -v[122:123]
	;; [unrolled: 3-line block ×3, first 2 shown]
	v_fma_f64 v[204:205], v[11:12], v[138:139], v[13:14]
	ds_read_b128 v[9:12], v104
	v_fma_f64 v[192:193], v[15:16], v[126:127], v[116:117]
	s_waitcnt vmcnt(1) lgkmcnt(2)
	v_mul_f64 v[122:123], v[3:4], v[148:149]
	v_mul_f64 v[124:125], v[1:2], v[148:149]
	s_waitcnt vmcnt(0) lgkmcnt(1)
	v_mul_f64 v[126:127], v[7:8], v[152:153]
	v_mul_f64 v[118:119], v[112:113], v[144:145]
	v_mul_f64 v[120:121], v[110:111], v[144:145]
	v_mul_f64 v[128:129], v[5:6], v[152:153]
	s_waitcnt lgkmcnt(0)
	v_add_f64 v[114:115], v[9:10], -v[154:155]
	v_add_f64 v[116:117], v[11:12], -v[156:157]
	ds_read_b128 v[13:16], v104 offset:2048
	v_fma_f64 v[210:211], v[1:2], v[146:147], -v[122:123]
	v_fma_f64 v[212:213], v[3:4], v[146:147], v[124:125]
	v_fma_f64 v[214:215], v[5:6], v[150:151], -v[126:127]
	v_mov_b32_e32 v6, 0xf00
	s_waitcnt lgkmcnt(0)
	v_add_f64 v[146:147], v[13:14], -v[158:159]
	v_add_f64 v[148:149], v[15:16], -v[160:161]
	v_lshlrev_b32_e32 v5, 4, v17
	v_cndmask_b32_e32 v6, 0, v6, vcc
	v_fma_f64 v[206:207], v[110:111], v[142:143], -v[118:119]
	v_fma_f64 v[208:209], v[112:113], v[142:143], v[120:121]
	v_fma_f64 v[216:217], v[7:8], v[150:151], v[128:129]
	v_fma_f64 v[1:2], v[9:10], 2.0, -v[114:115]
	v_fma_f64 v[3:4], v[11:12], 2.0, -v[116:117]
	v_add3_u32 v17, 0, v6, v5
	ds_read_b128 v[5:8], v104 offset:4096
	ds_read_b128 v[9:12], v104 offset:6144
	;; [unrolled: 1-line block ×10, first 2 shown]
	s_waitcnt lgkmcnt(9)
	v_add_f64 v[158:159], v[5:6], -v[166:167]
	v_add_f64 v[160:161], v[7:8], -v[168:169]
	v_fma_f64 v[13:14], v[13:14], 2.0, -v[146:147]
	v_fma_f64 v[15:16], v[15:16], 2.0, -v[148:149]
	ds_read_b128 v[150:153], v104 offset:26624
	ds_read_b128 v[154:157], v104 offset:28672
	s_waitcnt lgkmcnt(0)
	s_barrier
	ds_write_b128 v17, v[1:4]
	ds_write_b128 v17, v[114:117] offset:1920
	v_fma_f64 v[1:2], v[5:6], 2.0, -v[158:159]
	v_fma_f64 v[3:4], v[7:8], 2.0, -v[160:161]
	v_add_f64 v[5:6], v[9:10], -v[170:171]
	v_add_f64 v[7:8], v[11:12], -v[172:173]
	v_mul_u32_u24_e32 v17, 0xf00, v33
	v_add3_u32 v17, 0, v17, v32
	ds_write_b128 v17, v[13:16]
	v_mul_u32_u24_e32 v13, 0xf00, v34
	v_add3_u32 v13, 0, v13, v36
	ds_write_b128 v17, v[146:149] offset:1920
	ds_write_b128 v13, v[1:4]
	v_add_f64 v[1:2], v[110:111], -v[174:175]
	v_add_f64 v[3:4], v[112:113], -v[176:177]
	v_fma_f64 v[9:10], v[9:10], 2.0, -v[5:6]
	v_fma_f64 v[11:12], v[11:12], 2.0, -v[7:8]
	ds_write_b128 v13, v[158:161] offset:1920
	v_add_f64 v[13:14], v[118:119], -v[178:179]
	v_add_f64 v[15:16], v[120:121], -v[180:181]
	v_mul_u32_u24_e32 v17, 0xf00, v35
	v_add3_u32 v17, 0, v17, v18
	v_fma_f64 v[32:33], v[110:111], 2.0, -v[1:2]
	v_fma_f64 v[34:35], v[112:113], 2.0, -v[3:4]
	ds_write_b128 v17, v[9:12]
	ds_write_b128 v17, v[5:8] offset:1920
	v_mul_u32_u24_e32 v9, 0xf00, v37
	v_fma_f64 v[5:6], v[118:119], 2.0, -v[13:14]
	v_fma_f64 v[7:8], v[120:121], 2.0, -v[15:16]
	v_add3_u32 v17, 0, v9, v38
	v_add_f64 v[9:10], v[122:123], -v[182:183]
	v_add_f64 v[11:12], v[124:125], -v[186:187]
	ds_write_b128 v17, v[1:4] offset:1920
	v_mul_u32_u24_e32 v1, 0xf00, v39
	ds_write_b128 v17, v[32:35]
	v_add3_u32 v17, 0, v1, v40
	ds_write_b128 v17, v[5:8]
	v_add_f64 v[1:2], v[162:163], -v[184:185]
	v_add_f64 v[3:4], v[164:165], -v[188:189]
	v_fma_f64 v[5:6], v[122:123], 2.0, -v[9:10]
	v_fma_f64 v[7:8], v[124:125], 2.0, -v[11:12]
	ds_write_b128 v17, v[13:16] offset:1920
	v_add_f64 v[13:14], v[126:127], -v[190:191]
	v_add_f64 v[15:16], v[128:129], -v[192:193]
	v_mul_u32_u24_e32 v17, 0xf00, v44
	v_add3_u32 v17, 0, v17, v41
	v_fma_f64 v[32:33], v[162:163], 2.0, -v[1:2]
	v_fma_f64 v[34:35], v[164:165], 2.0, -v[3:4]
	ds_write_b128 v17, v[5:8]
	ds_write_b128 v17, v[9:12] offset:1920
	v_mul_u32_u24_e32 v9, 0xf00, v48
	v_fma_f64 v[5:6], v[126:127], 2.0, -v[13:14]
	v_fma_f64 v[7:8], v[128:129], 2.0, -v[15:16]
	v_add3_u32 v17, 0, v9, v50
	v_add_f64 v[9:10], v[130:131], -v[194:195]
	v_add_f64 v[11:12], v[132:133], -v[196:197]
	ds_write_b128 v17, v[1:4] offset:1920
	v_mul_u32_u24_e32 v1, 0xf00, v49
	ds_write_b128 v17, v[32:35]
	v_add3_u32 v17, 0, v1, v51
	v_add_f64 v[1:2], v[134:135], -v[198:199]
	v_add_f64 v[3:4], v[136:137], -v[200:201]
	ds_write_b128 v17, v[5:8]
	v_fma_f64 v[5:6], v[130:131], 2.0, -v[9:10]
	v_fma_f64 v[7:8], v[132:133], 2.0, -v[11:12]
	ds_write_b128 v17, v[13:16] offset:1920
	v_add_f64 v[13:14], v[138:139], -v[202:203]
	v_add_f64 v[15:16], v[140:141], -v[204:205]
	v_mul_u32_u24_e32 v17, 0xf00, v42
	v_fma_f64 v[32:33], v[134:135], 2.0, -v[1:2]
	v_fma_f64 v[34:35], v[136:137], 2.0, -v[3:4]
	v_add3_u32 v17, 0, v17, v43
	ds_write_b128 v17, v[5:8]
	ds_write_b128 v17, v[9:12] offset:1920
	v_mul_u32_u24_e32 v9, 0xf00, v52
	v_fma_f64 v[5:6], v[138:139], 2.0, -v[13:14]
	v_fma_f64 v[7:8], v[140:141], 2.0, -v[15:16]
	v_add3_u32 v17, 0, v9, v93
	v_add_f64 v[9:10], v[142:143], -v[206:207]
	v_add_f64 v[11:12], v[144:145], -v[208:209]
	ds_write_b128 v17, v[1:4] offset:1920
	v_mul_u32_u24_e32 v1, 0xf00, v102
	ds_write_b128 v17, v[32:35]
	v_add3_u32 v17, 0, v1, v106
	v_add_f64 v[1:2], v[150:151], -v[210:211]
	v_add_f64 v[3:4], v[152:153], -v[212:213]
	ds_write_b128 v17, v[5:8]
	v_fma_f64 v[5:6], v[142:143], 2.0, -v[9:10]
	v_fma_f64 v[7:8], v[144:145], 2.0, -v[11:12]
	v_add_f64 v[32:33], v[154:155], -v[214:215]
	v_add_f64 v[34:35], v[156:157], -v[216:217]
	ds_write_b128 v17, v[13:16] offset:1920
	v_mul_u32_u24_e32 v17, 0xf00, v46
	v_fma_f64 v[13:14], v[150:151], 2.0, -v[1:2]
	v_fma_f64 v[15:16], v[152:153], 2.0, -v[3:4]
	v_add3_u32 v17, 0, v17, v47
	ds_write_b128 v17, v[5:8]
	v_fma_f64 v[5:6], v[154:155], 2.0, -v[32:33]
	v_fma_f64 v[7:8], v[156:157], 2.0, -v[34:35]
	ds_write_b128 v17, v[9:12] offset:1920
	v_mul_u32_u24_e32 v9, 0xf00, v105
	v_add3_u32 v9, 0, v9, v107
	ds_write_b128 v9, v[13:16]
	ds_write_b128 v9, v[1:4] offset:1920
	v_mul_u32_u24_e32 v1, 0xf00, v108
	v_add_co_u32_e32 v9, vcc, s12, v94
	v_add3_u32 v1, 0, v1, v109
	v_addc_co_u32_e32 v10, vcc, v19, v95, vcc
	ds_write_b128 v1, v[5:8]
	ds_write_b128 v1, v[32:35] offset:1920
	v_add_u32_e32 v1, 0xffffff90, v57
	v_cmp_gt_u32_e32 vcc, s4, v45
	s_waitcnt lgkmcnt(0)
	s_barrier
	global_load_dwordx4 v[33:36], v[9:10], off offset:3680
	v_cndmask_b32_e32 v1, v1, v45, vcc
	v_mov_b32_e32 v2, v58
	v_lshlrev_b64 v[2:3], 4, v[1:2]
	v_lshrrev_b32_e32 v4, 23, v29
	v_add_co_u32_e32 v2, vcc, s12, v2
	v_addc_co_u32_e32 v3, vcc, v19, v3, vcc
	v_add_co_u32_e32 v11, vcc, s12, v96
	v_addc_co_u32_e32 v12, vcc, v19, v97, vcc
	global_load_dwordx4 v[41:44], v[11:12], off offset:3936
	global_load_dwordx4 v[37:40], v[2:3], off offset:3680
	v_mul_lo_u16_e32 v4, 0xf0, v4
	v_sub_u16_e32 v4, v98, v4
	v_lshlrev_b32_e32 v8, 4, v4
	global_load_dwordx4 v[93:96], v8, s[12:13] offset:3680
	v_lshrrev_b32_e32 v2, 23, v28
	v_mul_lo_u16_e32 v3, 0xf0, v2
	v_sub_u16_e32 v3, v82, v3
	v_lshlrev_b32_e32 v3, 4, v3
	global_load_dwordx4 v[46:49], v3, s[12:13] offset:3680
	v_lshrrev_b32_e32 v4, 23, v30
	v_mul_lo_u16_e32 v5, 0xf0, v4
	v_lshrrev_b32_e32 v6, 23, v31
	v_sub_u16_e32 v5, v99, v5
	v_mul_lo_u16_e32 v6, 0xf0, v6
	v_lshrrev_b32_e32 v13, 18, v27
	v_lshlrev_b32_e32 v5, 4, v5
	global_load_dwordx4 v[105:108], v5, s[12:13] offset:3680
	v_sub_u16_e32 v6, v100, v6
	v_mul_lo_u16_e32 v7, 0xf0, v13
	v_lshlrev_b32_e32 v6, 4, v6
	v_sub_u16_e32 v7, v103, v7
	v_lshlrev_b32_e32 v14, 4, v7
	global_load_dwordx4 v[97:100], v6, s[12:13] offset:3680
	global_load_dwordx4 v[109:112], v14, s[12:13] offset:3680
	v_lshrrev_b32_e32 v7, 23, v26
	v_mul_lo_u16_e32 v7, 0xf0, v7
	v_sub_u16_e32 v7, v86, v7
	v_lshlrev_b32_e32 v7, 4, v7
	global_load_dwordx4 v[113:116], v7, s[12:13] offset:3680
	v_lshrrev_b32_e32 v15, 23, v25
	v_mul_lo_u16_e32 v16, 0xf0, v15
	v_sub_u16_e32 v16, v87, v16
	v_lshlrev_b32_e32 v16, 4, v16
	global_load_dwordx4 v[117:120], v16, s[12:13] offset:3680
	v_lshrrev_b32_e32 v17, 23, v24
	v_mul_lo_u16_e32 v17, 0xf0, v17
	v_sub_u16_e32 v17, v88, v17
	v_lshrrev_b32_e32 v28, 23, v20
	v_lshlrev_b32_e32 v18, 4, v17
	v_mul_lo_u16_e32 v17, 0xf0, v28
	v_sub_u16_e32 v17, v89, v17
	v_lshlrev_b32_e32 v29, 4, v17
	global_load_dwordx4 v[121:124], v18, s[12:13] offset:3680
	global_load_dwordx4 v[125:128], v29, s[12:13] offset:3680
	v_lshrrev_b32_e32 v17, 23, v23
	v_mul_lo_u16_e32 v17, 0xf0, v17
	v_sub_u16_e32 v17, v90, v17
	v_lshlrev_b32_e32 v17, 4, v17
	global_load_dwordx4 v[129:132], v17, s[12:13] offset:3680
	v_lshrrev_b32_e32 v30, 23, v22
	v_mul_lo_u16_e32 v31, 0xf0, v30
	v_sub_u16_e32 v31, v91, v31
	v_lshlrev_b32_e32 v31, 4, v31
	;; [unrolled: 5-line block ×3, first 2 shown]
	global_load_dwordx4 v[137:140], v32, s[12:13] offset:3680
	ds_read_b128 v[141:144], v104 offset:30720
	ds_read_b128 v[145:148], v83
	ds_read_b128 v[149:152], v104 offset:32768
	ds_read_b128 v[153:156], v104 offset:34816
	;; [unrolled: 1-line block ×3, first 2 shown]
	s_movk_i32 s4, 0xef
	v_mov_b32_e32 v52, 0x1e00
	v_cmp_lt_u32_e32 vcc, s4, v45
	v_lshlrev_b32_e32 v1, 4, v1
	v_cndmask_b32_e32 v45, 0, v52, vcc
	s_waitcnt vmcnt(14) lgkmcnt(4)
	v_mul_f64 v[50:51], v[143:144], v[35:36]
	v_mul_f64 v[35:36], v[141:142], v[35:36]
	v_add3_u32 v1, 0, v45, v1
	v_add_u32_e32 v17, 0, v17
	s_movk_i32 s4, 0x1000
	v_fma_f64 v[50:51], v[141:142], v[33:34], -v[50:51]
	v_fma_f64 v[143:144], v[143:144], v[33:34], v[35:36]
	ds_read_b128 v[33:36], v104 offset:38912
	s_waitcnt vmcnt(13) lgkmcnt(2)
	v_mul_f64 v[141:142], v[155:156], v[43:44]
	s_waitcnt vmcnt(12)
	v_mul_f64 v[161:162], v[151:152], v[39:40]
	v_mul_f64 v[39:40], v[149:150], v[39:40]
	;; [unrolled: 1-line block ×3, first 2 shown]
	v_fma_f64 v[153:154], v[153:154], v[41:42], -v[141:142]
	v_fma_f64 v[149:150], v[149:150], v[37:38], -v[161:162]
	s_waitcnt vmcnt(10) lgkmcnt(1)
	v_mul_f64 v[161:162], v[159:160], v[48:49]
	v_fma_f64 v[151:152], v[151:152], v[37:38], v[39:40]
	ds_read_b128 v[37:40], v104 offset:40960
	s_waitcnt lgkmcnt(1)
	v_mul_f64 v[141:142], v[35:36], v[95:96]
	v_mul_f64 v[95:96], v[33:34], v[95:96]
	;; [unrolled: 1-line block ×3, first 2 shown]
	v_fma_f64 v[155:156], v[155:156], v[41:42], v[43:44]
	ds_read_b128 v[41:44], v104 offset:43008
	v_fma_f64 v[157:158], v[157:158], v[46:47], -v[161:162]
	s_waitcnt vmcnt(9) lgkmcnt(1)
	v_mul_f64 v[161:162], v[39:40], v[107:108]
	v_fma_f64 v[163:164], v[33:34], v[93:94], -v[141:142]
	v_fma_f64 v[165:166], v[35:36], v[93:94], v[95:96]
	ds_read_b128 v[33:36], v104 offset:45056
	v_mul_f64 v[93:94], v[37:38], v[107:108]
	s_waitcnt vmcnt(8) lgkmcnt(1)
	v_mul_f64 v[95:96], v[43:44], v[99:100]
	v_fma_f64 v[159:160], v[159:160], v[46:47], v[48:49]
	ds_read_b128 v[46:49], v104 offset:47104
	s_waitcnt vmcnt(7) lgkmcnt(1)
	v_mul_f64 v[107:108], v[35:36], v[111:112]
	v_mul_f64 v[111:112], v[33:34], v[111:112]
	;; [unrolled: 1-line block ×3, first 2 shown]
	v_fma_f64 v[161:162], v[37:38], v[105:106], -v[161:162]
	v_fma_f64 v[167:168], v[39:40], v[105:106], v[93:94]
	ds_read_b128 v[37:40], v104 offset:49152
	v_fma_f64 v[169:170], v[41:42], v[97:98], -v[95:96]
	s_waitcnt vmcnt(6) lgkmcnt(1)
	v_mul_f64 v[41:42], v[46:47], v[115:116]
	v_mul_f64 v[141:142], v[48:49], v[115:116]
	v_fma_f64 v[173:174], v[33:34], v[109:110], -v[107:108]
	v_fma_f64 v[175:176], v[35:36], v[109:110], v[111:112]
	ds_read_b128 v[33:36], v104 offset:51200
	s_waitcnt vmcnt(5) lgkmcnt(1)
	v_mul_f64 v[93:94], v[39:40], v[119:120]
	v_fma_f64 v[171:172], v[43:44], v[97:98], v[99:100]
	v_mul_f64 v[95:96], v[37:38], v[119:120]
	v_fma_f64 v[179:180], v[48:49], v[113:114], v[41:42]
	ds_read_b128 v[41:44], v104 offset:53248
	s_waitcnt vmcnt(4) lgkmcnt(1)
	v_mul_f64 v[97:98], v[35:36], v[123:124]
	v_mul_f64 v[99:100], v[33:34], v[123:124]
	v_fma_f64 v[177:178], v[46:47], v[113:114], -v[141:142]
	ds_read_b128 v[46:49], v104 offset:55296
	s_waitcnt vmcnt(3) lgkmcnt(1)
	v_mul_f64 v[105:106], v[43:44], v[127:128]
	v_fma_f64 v[181:182], v[37:38], v[117:118], -v[93:94]
	v_mul_f64 v[37:38], v[41:42], v[127:128]
	v_fma_f64 v[183:184], v[39:40], v[117:118], v[95:96]
	v_fma_f64 v[185:186], v[33:34], v[121:122], -v[97:98]
	v_fma_f64 v[187:188], v[35:36], v[121:122], v[99:100]
	ds_read_b128 v[33:36], v104 offset:57344
	s_waitcnt vmcnt(2) lgkmcnt(1)
	v_mul_f64 v[93:94], v[48:49], v[131:132]
	v_mul_f64 v[107:108], v[46:47], v[131:132]
	v_fma_f64 v[189:190], v[41:42], v[125:126], -v[105:106]
	v_fma_f64 v[191:192], v[43:44], v[125:126], v[37:38]
	ds_read_b128 v[37:40], v104 offset:59392
	ds_read_b128 v[41:44], v104
	s_waitcnt vmcnt(1) lgkmcnt(2)
	v_mul_f64 v[105:106], v[35:36], v[135:136]
	v_fma_f64 v[193:194], v[46:47], v[129:130], -v[93:94]
	v_fma_f64 v[195:196], v[48:49], v[129:130], v[107:108]
	v_mul_f64 v[107:108], v[33:34], v[135:136]
	s_waitcnt lgkmcnt(0)
	v_add_f64 v[93:94], v[41:42], -v[50:51]
	v_add_f64 v[95:96], v[43:44], -v[143:144]
	ds_read_b128 v[46:49], v104 offset:2048
	s_waitcnt vmcnt(0)
	v_mul_f64 v[109:110], v[39:40], v[139:140]
	v_mul_f64 v[111:112], v[37:38], v[139:140]
	v_fma_f64 v[50:51], v[33:34], v[133:134], -v[105:106]
	s_waitcnt lgkmcnt(0)
	v_add_f64 v[97:98], v[46:47], -v[149:150]
	v_add_f64 v[99:100], v[48:49], -v[151:152]
	v_fma_f64 v[149:150], v[35:36], v[133:134], v[107:108]
	v_fma_f64 v[33:34], v[41:42], 2.0, -v[93:94]
	v_fma_f64 v[35:36], v[43:44], 2.0, -v[95:96]
	v_fma_f64 v[151:152], v[37:38], v[137:138], -v[109:110]
	v_fma_f64 v[197:198], v[39:40], v[137:138], v[111:112]
	v_fma_f64 v[37:38], v[46:47], 2.0, -v[97:98]
	v_fma_f64 v[39:40], v[48:49], 2.0, -v[99:100]
	ds_read_b128 v[41:44], v104 offset:4096
	ds_read_b128 v[46:49], v104 offset:6144
	;; [unrolled: 1-line block ×12, first 2 shown]
	s_waitcnt lgkmcnt(0)
	s_barrier
	ds_write_b128 v104, v[33:36]
	v_add_f64 v[33:34], v[41:42], -v[153:154]
	v_add_f64 v[35:36], v[43:44], -v[155:156]
	ds_write_b128 v104, v[93:96] offset:3840
	v_add_f64 v[93:94], v[46:47], -v[157:158]
	v_add_f64 v[95:96], v[48:49], -v[159:160]
	ds_write_b128 v1, v[37:40]
	ds_write_b128 v1, v[97:100] offset:3840
	v_add_f64 v[37:38], v[105:106], -v[163:164]
	v_add_f64 v[39:40], v[107:108], -v[165:166]
	v_fma_f64 v[41:42], v[41:42], 2.0, -v[33:34]
	v_fma_f64 v[43:44], v[43:44], 2.0, -v[35:36]
	v_mul_u32_u24_e32 v1, 0x1e00, v2
	v_fma_f64 v[45:46], v[46:47], 2.0, -v[93:94]
	v_fma_f64 v[47:48], v[48:49], 2.0, -v[95:96]
	ds_write_b128 v104, v[41:44] offset:7936
	ds_write_b128 v104, v[33:36] offset:11776
	v_add3_u32 v1, 0, v1, v3
	v_fma_f64 v[33:34], v[105:106], 2.0, -v[37:38]
	v_fma_f64 v[35:36], v[107:108], 2.0, -v[39:40]
	v_add_f64 v[41:42], v[109:110], -v[161:162]
	v_add_f64 v[43:44], v[111:112], -v[167:168]
	ds_write_b128 v1, v[45:48]
	ds_write_b128 v1, v[93:96] offset:3840
	v_add_f64 v[45:46], v[113:114], -v[169:170]
	v_add_f64 v[47:48], v[115:116], -v[171:172]
	v_add_u32_e32 v1, 0, v8
	ds_write_b128 v1, v[37:40] offset:19200
	ds_write_b128 v1, v[33:36] offset:15360
	v_fma_f64 v[33:34], v[109:110], 2.0, -v[41:42]
	v_fma_f64 v[35:36], v[111:112], 2.0, -v[43:44]
	v_mul_u32_u24_e32 v1, 0x1e00, v4
	v_add3_u32 v5, 0, v1, v5
	v_fma_f64 v[1:2], v[113:114], 2.0, -v[45:46]
	v_fma_f64 v[3:4], v[115:116], 2.0, -v[47:48]
	v_add_f64 v[37:38], v[145:146], -v[173:174]
	v_add_f64 v[39:40], v[147:148], -v[175:176]
	ds_write_b128 v5, v[33:36]
	ds_write_b128 v5, v[41:44] offset:3840
	v_add_u32_e32 v5, 0, v6
	v_add_f64 v[33:34], v[117:118], -v[177:178]
	v_add_f64 v[35:36], v[119:120], -v[179:180]
	ds_write_b128 v5, v[1:4] offset:23040
	v_fma_f64 v[1:2], v[145:146], 2.0, -v[37:38]
	v_fma_f64 v[3:4], v[147:148], 2.0, -v[39:40]
	ds_write_b128 v5, v[45:48] offset:26880
	v_mul_u32_u24_e32 v5, 0x1e00, v13
	v_add3_u32 v5, 0, v5, v14
	v_add_f64 v[45:46], v[121:122], -v[181:182]
	v_add_f64 v[47:48], v[123:124], -v[183:184]
	v_fma_f64 v[41:42], v[117:118], 2.0, -v[33:34]
	v_fma_f64 v[43:44], v[119:120], 2.0, -v[35:36]
	ds_write_b128 v5, v[1:4]
	v_add_f64 v[1:2], v[125:126], -v[185:186]
	v_add_f64 v[3:4], v[127:128], -v[187:188]
	ds_write_b128 v5, v[37:40] offset:3840
	v_add_u32_e32 v13, 0, v7
	v_fma_f64 v[5:6], v[121:122], 2.0, -v[45:46]
	v_fma_f64 v[7:8], v[123:124], 2.0, -v[47:48]
	ds_write_b128 v13, v[33:36] offset:34560
	v_add_f64 v[37:38], v[129:130], -v[189:190]
	v_fma_f64 v[33:34], v[125:126], 2.0, -v[1:2]
	v_fma_f64 v[35:36], v[127:128], 2.0, -v[3:4]
	v_add_f64 v[39:40], v[131:132], -v[191:192]
	ds_write_b128 v13, v[41:44] offset:30720
	v_mul_u32_u24_e32 v13, 0x1e00, v15
	v_add3_u32 v13, 0, v13, v16
	ds_write_b128 v13, v[5:8]
	ds_write_b128 v13, v[45:48] offset:3840
	v_add_u32_e32 v5, 0, v18
	ds_write_b128 v5, v[33:36] offset:38400
	ds_write_b128 v5, v[1:4] offset:42240
	v_add_f64 v[1:2], v[133:134], -v[193:194]
	v_add_f64 v[3:4], v[135:136], -v[195:196]
	v_mul_u32_u24_e32 v13, 0x1e00, v28
	v_fma_f64 v[5:6], v[129:130], 2.0, -v[37:38]
	v_fma_f64 v[7:8], v[131:132], 2.0, -v[39:40]
	v_add3_u32 v18, 0, v13, v29
	v_add_f64 v[13:14], v[137:138], -v[50:51]
	v_add_f64 v[15:16], v[139:140], -v[149:150]
	;; [unrolled: 1-line block ×4, first 2 shown]
	v_fma_f64 v[33:34], v[133:134], 2.0, -v[1:2]
	v_fma_f64 v[35:36], v[135:136], 2.0, -v[3:4]
	ds_write_b128 v18, v[5:8]
	ds_write_b128 v18, v[37:40] offset:3840
	ds_write_b128 v17, v[33:36] offset:46080
	;; [unrolled: 1-line block ×3, first 2 shown]
	v_fma_f64 v[5:6], v[137:138], 2.0, -v[13:14]
	v_fma_f64 v[7:8], v[139:140], 2.0, -v[15:16]
	v_fma_f64 v[37:38], v[141:142], 2.0, -v[41:42]
	v_fma_f64 v[39:40], v[143:144], 2.0, -v[43:44]
	v_mul_u32_u24_e32 v1, 0x1e00, v30
	v_add3_u32 v1, 0, v1, v31
	ds_write_b128 v1, v[5:8]
	ds_write_b128 v1, v[13:16] offset:3840
	v_add_u32_e32 v1, 0, v32
	ds_write_b128 v1, v[37:40] offset:53760
	ds_write_b128 v1, v[41:44] offset:57600
	v_add_co_u32_e32 v1, vcc, s4, v9
	v_addc_co_u32_e32 v2, vcc, 0, v10, vcc
	v_add_co_u32_e32 v15, vcc, s5, v11
	v_addc_co_u32_e32 v16, vcc, 0, v12, vcc
	v_add_co_u32_e32 v13, vcc, s12, v84
	v_addc_co_u32_e32 v14, vcc, v19, v85, vcc
	s_movk_i32 s5, 0x1e0
	v_add_u32_e32 v17, 0xffffffa0, v57
	v_cmp_gt_u32_e32 vcc, s5, v82
	v_cndmask_b32_e32 v57, v17, v82, vcc
	v_lshlrev_b64 v[17:18], 4, v[57:58]
	s_waitcnt lgkmcnt(0)
	s_barrier
	global_load_dwordx4 v[5:8], v[1:2], off offset:3424
	s_nop 0
	global_load_dwordx4 v[1:4], v[15:16], off offset:1376
	v_add_co_u32_e32 v28, vcc, s12, v17
	v_addc_co_u32_e32 v29, vcc, v19, v18, vcc
	v_add_co_u32_e32 v17, vcc, s4, v13
	v_addc_co_u32_e32 v18, vcc, 0, v14, vcc
	;; [unrolled: 2-line block ×3, first 2 shown]
	global_load_dwordx4 v[28:31], v[17:18], off offset:3424
	global_load_dwordx4 v[32:35], v[36:37], off offset:3424
	s_nop 0
	global_load_dwordx4 v[36:39], v[15:16], off offset:1888
	global_load_dwordx4 v[40:43], v[15:16], off offset:3936
	v_lshrrev_b32_e32 v15, 19, v27
	v_mul_lo_u16_e32 v16, 0x1e0, v15
	v_add_co_u32_e32 v17, vcc, s4, v11
	v_sub_u16_e32 v16, v103, v16
	v_addc_co_u32_e32 v18, vcc, 0, v12, vcc
	v_lshlrev_b32_e32 v16, 4, v16
	v_add_co_u32_e32 v27, vcc, s12, v16
	v_addc_co_u32_e32 v44, vcc, 0, v19, vcc
	v_add_co_u32_e32 v84, vcc, s4, v27
	v_addc_co_u32_e32 v85, vcc, 0, v44, vcc
	global_load_dwordx4 v[44:47], v[17:18], off offset:3936
	global_load_dwordx4 v[48:51], v[84:85], off offset:3424
	v_mul_lo_u16_sdwa v17, v26, s5 dst_sel:DWORD dst_unused:UNUSED_PAD src0_sel:BYTE_3 src1_sel:DWORD
	v_sub_u16_e32 v17, v86, v17
	v_lshlrev_b32_e32 v17, 4, v17
	v_add_co_u32_e32 v18, vcc, s12, v17
	v_addc_co_u32_e32 v27, vcc, 0, v19, vcc
	v_add_co_u32_e32 v26, vcc, s4, v18
	v_mul_lo_u16_sdwa v18, v25, s5 dst_sel:DWORD dst_unused:UNUSED_PAD src0_sel:BYTE_3 src1_sel:DWORD
	v_sub_u16_e32 v18, v87, v18
	v_addc_co_u32_e32 v27, vcc, 0, v27, vcc
	v_lshlrev_b32_e32 v18, 4, v18
	v_add_co_u32_e32 v25, vcc, s12, v18
	v_addc_co_u32_e32 v52, vcc, 0, v19, vcc
	v_mul_lo_u16_sdwa v24, v24, s5 dst_sel:DWORD dst_unused:UNUSED_PAD src0_sel:BYTE_3 src1_sel:DWORD
	v_add_co_u32_e32 v97, vcc, s4, v25
	v_sub_u16_e32 v24, v88, v24
	v_addc_co_u32_e32 v98, vcc, 0, v52, vcc
	v_lshlrev_b32_e32 v25, 4, v24
	v_add_co_u32_e32 v24, vcc, s12, v25
	global_load_dwordx4 v[84:87], v[26:27], off offset:3424
	global_load_dwordx4 v[93:96], v[97:98], off offset:3424
	v_addc_co_u32_e32 v27, vcc, 0, v19, vcc
	v_add_co_u32_e32 v26, vcc, s4, v24
	v_mul_lo_u16_sdwa v24, v20, s5 dst_sel:DWORD dst_unused:UNUSED_PAD src0_sel:BYTE_3 src1_sel:DWORD
	v_sub_u16_e32 v24, v89, v24
	v_addc_co_u32_e32 v27, vcc, 0, v27, vcc
	v_lshlrev_b32_e32 v24, 4, v24
	v_add_co_u32_e32 v52, vcc, s12, v24
	v_addc_co_u32_e32 v89, vcc, 0, v19, vcc
	v_mul_lo_u16_sdwa v23, v23, s5 dst_sel:DWORD dst_unused:UNUSED_PAD src0_sel:BYTE_3 src1_sel:DWORD
	v_add_co_u32_e32 v88, vcc, s4, v52
	v_sub_u16_e32 v23, v90, v23
	v_addc_co_u32_e32 v89, vcc, 0, v89, vcc
	v_lshlrev_b32_e32 v23, 4, v23
	global_load_dwordx4 v[97:100], v[26:27], off offset:3424
	global_load_dwordx4 v[105:108], v[88:89], off offset:3424
	v_add_co_u32_e32 v26, vcc, s12, v23
	v_addc_co_u32_e32 v27, vcc, 0, v19, vcc
	v_mul_lo_u16_sdwa v22, v22, s5 dst_sel:DWORD dst_unused:UNUSED_PAD src0_sel:BYTE_3 src1_sel:DWORD
	v_add_co_u32_e32 v26, vcc, s4, v26
	v_sub_u16_e32 v22, v91, v22
	v_addc_co_u32_e32 v27, vcc, 0, v27, vcc
	v_lshlrev_b32_e32 v22, 4, v22
	v_add_co_u32_e32 v52, vcc, s12, v22
	v_addc_co_u32_e32 v88, vcc, 0, v19, vcc
	v_mul_lo_u16_sdwa v21, v21, s5 dst_sel:DWORD dst_unused:UNUSED_PAD src0_sel:BYTE_3 src1_sel:DWORD
	v_add_co_u32_e32 v113, vcc, s4, v52
	v_sub_u16_e32 v21, v92, v21
	v_addc_co_u32_e32 v114, vcc, 0, v88, vcc
	v_lshlrev_b32_e32 v21, 4, v21
	global_load_dwordx4 v[88:91], v[26:27], off offset:3424
	global_load_dwordx4 v[109:112], v[113:114], off offset:3424
	v_add_co_u32_e32 v26, vcc, s12, v21
	v_addc_co_u32_e32 v27, vcc, 0, v19, vcc
	v_add_co_u32_e32 v26, vcc, s4, v26
	v_addc_co_u32_e32 v27, vcc, 0, v27, vcc
	global_load_dwordx4 v[113:116], v[26:27], off offset:3424
	ds_read_b128 v[117:120], v104 offset:30720
	ds_read_b128 v[121:124], v83
	ds_read_b128 v[125:128], v104 offset:32768
	ds_read_b128 v[129:132], v104 offset:34816
	;; [unrolled: 1-line block ×3, first 2 shown]
	s_waitcnt vmcnt(14) lgkmcnt(4)
	v_mul_f64 v[26:27], v[119:120], v[7:8]
	v_mul_f64 v[7:8], v[117:118], v[7:8]
	s_waitcnt vmcnt(13) lgkmcnt(2)
	v_mul_f64 v[137:138], v[127:128], v[3:4]
	v_mul_f64 v[139:140], v[125:126], v[3:4]
	s_movk_i32 s4, 0x1df
	v_cmp_lt_u32_e32 vcc, s4, v82
	s_movk_i32 s4, 0x3c00
	v_mul_u32_u24_sdwa v20, v20, s4 dst_sel:DWORD dst_unused:UNUSED_PAD src0_sel:BYTE_3 src1_sel:DWORD
	v_fma_f64 v[141:142], v[117:118], v[5:6], -v[26:27]
	s_waitcnt vmcnt(12) lgkmcnt(1)
	v_mul_f64 v[26:27], v[131:132], v[30:31]
	v_fma_f64 v[143:144], v[119:120], v[5:6], v[7:8]
	ds_read_b128 v[3:6], v104 offset:38912
	v_mul_f64 v[7:8], v[129:130], v[30:31]
	s_waitcnt vmcnt(11) lgkmcnt(1)
	v_mul_f64 v[30:31], v[135:136], v[34:35]
	v_fma_f64 v[125:126], v[125:126], v[1:2], -v[137:138]
	v_fma_f64 v[127:128], v[127:128], v[1:2], v[139:140]
	v_mul_f64 v[1:2], v[133:134], v[34:35]
	s_waitcnt vmcnt(8) lgkmcnt(0)
	v_mul_f64 v[34:35], v[5:6], v[46:47]
	ds_read_b128 v[117:120], v104 offset:40960
	v_fma_f64 v[129:130], v[129:130], v[28:29], -v[26:27]
	v_fma_f64 v[131:132], v[131:132], v[28:29], v[7:8]
	ds_read_b128 v[26:29], v104 offset:43008
	v_fma_f64 v[133:134], v[133:134], v[32:33], -v[30:31]
	v_mul_f64 v[7:8], v[3:4], v[46:47]
	s_waitcnt lgkmcnt(1)
	v_mul_f64 v[30:31], v[119:120], v[38:39]
	v_mul_f64 v[38:39], v[117:118], v[38:39]
	v_fma_f64 v[137:138], v[3:4], v[44:45], -v[34:35]
	s_waitcnt lgkmcnt(0)
	v_mul_f64 v[34:35], v[26:27], v[42:43]
	v_fma_f64 v[135:136], v[135:136], v[32:33], v[1:2]
	v_mul_f64 v[32:33], v[28:29], v[42:43]
	ds_read_b128 v[1:4], v104 offset:45056
	v_fma_f64 v[139:140], v[5:6], v[44:45], v[7:8]
	ds_read_b128 v[5:8], v104 offset:47104
	v_fma_f64 v[145:146], v[117:118], v[36:37], -v[30:31]
	v_fma_f64 v[147:148], v[119:120], v[36:37], v[38:39]
	s_waitcnt vmcnt(7) lgkmcnt(1)
	v_mul_f64 v[36:37], v[3:4], v[50:51]
	v_fma_f64 v[151:152], v[28:29], v[40:41], v[34:35]
	v_mul_f64 v[34:35], v[1:2], v[50:51]
	v_fma_f64 v[149:150], v[26:27], v[40:41], -v[32:33]
	ds_read_b128 v[26:29], v104 offset:49152
	ds_read_b128 v[30:33], v104 offset:51200
	s_waitcnt vmcnt(6) lgkmcnt(2)
	v_mul_f64 v[38:39], v[7:8], v[86:87]
	v_mul_f64 v[40:41], v[5:6], v[86:87]
	v_fma_f64 v[50:51], v[1:2], v[48:49], -v[36:37]
	s_waitcnt vmcnt(5) lgkmcnt(1)
	v_mul_f64 v[36:37], v[28:29], v[95:96]
	v_mul_f64 v[42:43], v[26:27], v[95:96]
	s_waitcnt vmcnt(4) lgkmcnt(0)
	v_mul_f64 v[44:45], v[32:33], v[99:100]
	v_fma_f64 v[153:154], v[3:4], v[48:49], v[34:35]
	v_mul_f64 v[34:35], v[30:31], v[99:100]
	ds_read_b128 v[1:4], v104 offset:53248
	v_fma_f64 v[155:156], v[5:6], v[84:85], -v[38:39]
	v_fma_f64 v[157:158], v[7:8], v[84:85], v[40:41]
	ds_read_b128 v[5:8], v104 offset:55296
	v_fma_f64 v[159:160], v[26:27], v[93:94], -v[36:37]
	s_waitcnt vmcnt(3) lgkmcnt(1)
	v_mul_f64 v[36:37], v[3:4], v[107:108]
	v_fma_f64 v[161:162], v[28:29], v[93:94], v[42:43]
	v_fma_f64 v[163:164], v[30:31], v[97:98], -v[44:45]
	v_fma_f64 v[165:166], v[32:33], v[97:98], v[34:35]
	ds_read_b128 v[26:29], v104 offset:57344
	ds_read_b128 v[30:33], v104 offset:59392
	v_mul_f64 v[34:35], v[1:2], v[107:108]
	v_add3_u32 v20, 0, v20, v24
	v_fma_f64 v[167:168], v[1:2], v[105:106], -v[36:37]
	s_movk_i32 s4, 0x3000
	s_movk_i32 s5, 0x4000
	s_waitcnt vmcnt(2) lgkmcnt(2)
	v_mul_f64 v[38:39], v[7:8], v[90:91]
	v_mul_f64 v[40:41], v[5:6], v[90:91]
	s_waitcnt vmcnt(1) lgkmcnt(1)
	v_mul_f64 v[42:43], v[28:29], v[111:112]
	v_mul_f64 v[36:37], v[26:27], v[111:112]
	v_fma_f64 v[169:170], v[3:4], v[105:106], v[34:35]
	ds_read_b128 v[1:4], v104
	v_fma_f64 v[171:172], v[5:6], v[88:89], -v[38:39]
	v_fma_f64 v[173:174], v[7:8], v[88:89], v[40:41]
	ds_read_b128 v[5:8], v104 offset:2048
	s_waitcnt vmcnt(0) lgkmcnt(2)
	v_mul_f64 v[44:45], v[32:33], v[115:116]
	v_mul_f64 v[46:47], v[30:31], v[115:116]
	v_fma_f64 v[175:176], v[26:27], v[109:110], -v[42:43]
	v_fma_f64 v[177:178], v[28:29], v[109:110], v[36:37]
	s_waitcnt lgkmcnt(1)
	v_add_f64 v[26:27], v[1:2], -v[141:142]
	v_add_f64 v[28:29], v[3:4], -v[143:144]
	s_waitcnt lgkmcnt(0)
	v_add_f64 v[38:39], v[5:6], -v[125:126]
	v_add_f64 v[40:41], v[7:8], -v[127:128]
	v_fma_f64 v[179:180], v[30:31], v[113:114], -v[44:45]
	v_fma_f64 v[181:182], v[32:33], v[113:114], v[46:47]
	ds_read_b128 v[30:33], v104 offset:4096
	ds_read_b128 v[34:37], v104 offset:6144
	v_fma_f64 v[1:2], v[1:2], 2.0, -v[26:27]
	v_fma_f64 v[3:4], v[3:4], 2.0, -v[28:29]
	;; [unrolled: 1-line block ×3, first 2 shown]
	s_waitcnt lgkmcnt(1)
	v_add_f64 v[42:43], v[30:31], -v[129:130]
	v_add_f64 v[44:45], v[32:33], -v[131:132]
	v_fma_f64 v[7:8], v[7:8], 2.0, -v[40:41]
	ds_read_b128 v[84:87], v104 offset:8192
	ds_read_b128 v[88:91], v104 offset:10240
	ds_read_b128 v[92:95], v104 offset:12288
	ds_read_b128 v[96:99], v104 offset:16384
	ds_read_b128 v[105:108], v104 offset:18432
	ds_read_b128 v[109:112], v104 offset:20480
	ds_read_b128 v[113:116], v104 offset:22528
	ds_read_b128 v[117:120], v104 offset:24576
	ds_read_b128 v[125:128], v104 offset:26624
	ds_read_b128 v[129:132], v104 offset:28672
	s_waitcnt lgkmcnt(0)
	s_barrier
	v_add_f64 v[46:47], v[34:35], -v[133:134]
	v_fma_f64 v[30:31], v[30:31], 2.0, -v[42:43]
	v_fma_f64 v[32:33], v[32:33], 2.0, -v[44:45]
	ds_write_b128 v104, v[1:4]
	ds_write_b128 v104, v[26:29] offset:7680
	ds_write_b128 v104, v[5:8] offset:2048
	;; [unrolled: 1-line block ×5, first 2 shown]
	v_mov_b32_e32 v3, 0x3c00
	v_add_f64 v[48:49], v[36:37], -v[135:136]
	v_cndmask_b32_e32 v3, 0, v3, vcc
	v_lshlrev_b32_e32 v4, 4, v57
	v_add_f64 v[1:2], v[84:85], -v[137:138]
	v_add3_u32 v38, 0, v3, v4
	v_add_f64 v[3:4], v[86:87], -v[139:140]
	v_fma_f64 v[34:35], v[34:35], 2.0, -v[46:47]
	v_add_f64 v[26:27], v[88:89], -v[145:146]
	v_fma_f64 v[36:37], v[36:37], 2.0, -v[48:49]
	v_add_f64 v[28:29], v[90:91], -v[147:148]
	v_add_f64 v[30:31], v[92:93], -v[149:150]
	v_fma_f64 v[5:6], v[84:85], 2.0, -v[1:2]
	v_add_f64 v[32:33], v[94:95], -v[151:152]
	v_fma_f64 v[7:8], v[86:87], 2.0, -v[3:4]
	ds_write_b128 v38, v[46:49] offset:7680
	ds_write_b128 v38, v[34:37]
	v_add_f64 v[34:35], v[121:122], -v[50:51]
	v_add_f64 v[36:37], v[123:124], -v[153:154]
	v_fma_f64 v[38:39], v[88:89], 2.0, -v[26:27]
	v_fma_f64 v[40:41], v[90:91], 2.0, -v[28:29]
	;; [unrolled: 1-line block ×4, first 2 shown]
	ds_write_b128 v104, v[5:8] offset:15872
	ds_write_b128 v104, v[1:4] offset:23552
	v_add_f64 v[1:2], v[96:97], -v[155:156]
	v_add_f64 v[3:4], v[98:99], -v[157:158]
	v_fma_f64 v[46:47], v[121:122], 2.0, -v[34:35]
	v_fma_f64 v[48:49], v[123:124], 2.0, -v[36:37]
	ds_write_b128 v104, v[38:41] offset:17920
	ds_write_b128 v104, v[26:29] offset:25600
	v_mul_u32_u24_e32 v5, 0x3c00, v15
	v_add_f64 v[26:27], v[105:106], -v[159:160]
	v_add_f64 v[28:29], v[107:108], -v[161:162]
	ds_write_b128 v104, v[42:45] offset:19968
	ds_write_b128 v104, v[30:33] offset:27648
	v_add3_u32 v15, 0, v5, v16
	v_fma_f64 v[5:6], v[96:97], 2.0, -v[1:2]
	v_fma_f64 v[7:8], v[98:99], 2.0, -v[3:4]
	v_add_f64 v[30:31], v[109:110], -v[163:164]
	v_add_f64 v[32:33], v[111:112], -v[165:166]
	ds_write_b128 v15, v[46:49]
	ds_write_b128 v15, v[34:37] offset:7680
	v_add_u32_e32 v15, 0, v17
	v_fma_f64 v[34:35], v[105:106], 2.0, -v[26:27]
	v_fma_f64 v[36:37], v[107:108], 2.0, -v[28:29]
	ds_write_b128 v15, v[1:4] offset:38400
	ds_write_b128 v15, v[5:8] offset:30720
	v_fma_f64 v[5:6], v[109:110], 2.0, -v[30:31]
	v_fma_f64 v[7:8], v[111:112], 2.0, -v[32:33]
	v_add_f64 v[1:2], v[113:114], -v[167:168]
	v_add_f64 v[3:4], v[115:116], -v[169:170]
	v_add_u32_e32 v15, 0, v18
	ds_write_b128 v15, v[34:37] offset:30720
	ds_write_b128 v15, v[26:29] offset:38400
	v_add_u32_e32 v15, 0, v25
	ds_write_b128 v15, v[5:8] offset:30720
	ds_write_b128 v15, v[30:33] offset:38400
	v_add_f64 v[15:16], v[117:118], -v[171:172]
	v_add_f64 v[17:18], v[119:120], -v[173:174]
	v_fma_f64 v[5:6], v[113:114], 2.0, -v[1:2]
	v_fma_f64 v[7:8], v[115:116], 2.0, -v[3:4]
	v_add_f64 v[25:26], v[125:126], -v[175:176]
	v_add_f64 v[27:28], v[127:128], -v[177:178]
	;; [unrolled: 1-line block ×4, first 2 shown]
	v_fma_f64 v[33:34], v[117:118], 2.0, -v[15:16]
	v_fma_f64 v[35:36], v[119:120], 2.0, -v[17:18]
	ds_write_b128 v20, v[1:4] offset:7680
	ds_write_b128 v20, v[5:8]
	v_fma_f64 v[5:6], v[125:126], 2.0, -v[25:26]
	v_fma_f64 v[7:8], v[127:128], 2.0, -v[27:28]
	;; [unrolled: 1-line block ×4, first 2 shown]
	v_add_u32_e32 v20, 0, v23
	ds_write_b128 v20, v[33:36] offset:46080
	ds_write_b128 v20, v[15:18] offset:53760
	v_add_u32_e32 v15, 0, v22
	ds_write_b128 v15, v[5:8] offset:46080
	ds_write_b128 v15, v[25:28] offset:53760
	;; [unrolled: 3-line block ×3, first 2 shown]
	v_add_co_u32_e32 v1, vcc, s4, v9
	v_addc_co_u32_e32 v2, vcc, 0, v10, vcc
	v_add_co_u32_e32 v84, vcc, s5, v11
	s_waitcnt lgkmcnt(0)
	s_barrier
	v_addc_co_u32_e32 v85, vcc, 0, v12, vcc
	global_load_dwordx4 v[20:23], v[1:2], off offset:2912
	s_nop 0
	global_load_dwordx4 v[1:4], v[84:85], off offset:864
	v_add_co_u32_e32 v5, vcc, s12, v74
	v_addc_co_u32_e32 v6, vcc, v19, v75, vcc
	v_add_co_u32_e32 v7, vcc, s4, v13
	v_addc_co_u32_e32 v8, vcc, 0, v14, vcc
	;; [unrolled: 2-line block ×3, first 2 shown]
	global_load_dwordx4 v[24:27], v[7:8], off offset:2912
	global_load_dwordx4 v[28:31], v[15:16], off offset:2912
	v_add_co_u32_e32 v7, vcc, s12, v76
	v_addc_co_u32_e32 v8, vcc, v19, v77, vcc
	v_add_co_u32_e32 v15, vcc, s12, v78
	v_addc_co_u32_e32 v16, vcc, v19, v79, vcc
	;; [unrolled: 2-line block ×4, first 2 shown]
	global_load_dwordx4 v[32:35], v[17:18], off offset:2912
	global_load_dwordx4 v[36:39], v[40:41], off offset:2912
	v_add_co_u32_e32 v17, vcc, s12, v80
	v_addc_co_u32_e32 v18, vcc, v19, v81, vcc
	v_add_co_u32_e32 v40, vcc, s4, v17
	v_addc_co_u32_e32 v41, vcc, 0, v18, vcc
	global_load_dwordx4 v[40:43], v[40:41], off offset:2912
	s_movk_i32 s5, 0x3c0
	v_cmp_gt_u32_e32 vcc, s5, v103
	v_cndmask_b32_e32 v57, v0, v103, vcc
	v_lshlrev_b64 v[44:45], 4, v[57:58]
	v_add_co_u32_e32 v0, vcc, s12, v44
	v_addc_co_u32_e32 v45, vcc, v19, v45, vcc
	v_add_co_u32_e32 v44, vcc, s4, v0
	v_addc_co_u32_e32 v45, vcc, 0, v45, vcc
	global_load_dwordx4 v[44:47], v[44:45], off offset:2912
	v_add_co_u32_e32 v86, vcc, s4, v11
	v_addc_co_u32_e32 v87, vcc, 0, v12, vcc
	global_load_dwordx4 v[48:51], v[86:87], off offset:3936
	global_load_dwordx4 v[74:77], v[84:85], off offset:1888
	;; [unrolled: 1-line block ×3, first 2 shown]
	s_movk_i32 s4, 0x5000
	v_add_co_u32_e32 v92, vcc, s4, v11
	v_addc_co_u32_e32 v93, vcc, 0, v12, vcc
	global_load_dwordx4 v[84:87], v[92:93], off offset:1888
	global_load_dwordx4 v[88:91], v[92:93], off offset:3936
	s_movk_i32 s4, 0x6000
	v_add_co_u32_e32 v105, vcc, s4, v11
	v_addc_co_u32_e32 v106, vcc, 0, v12, vcc
	global_load_dwordx4 v[92:95], v[105:106], off offset:1888
	global_load_dwordx4 v[96:99], v[105:106], off offset:3936
	ds_read_b128 v[105:108], v104 offset:30720
	ds_read_b128 v[109:112], v83
	ds_read_b128 v[113:116], v104 offset:32768
	ds_read_b128 v[117:120], v104 offset:34816
	s_movk_i32 s4, 0x3bf
	v_cmp_lt_u32_e32 vcc, s4, v103
	s_movk_i32 s4, 0x7000
	s_waitcnt vmcnt(14) lgkmcnt(3)
	v_mul_f64 v[121:122], v[107:108], v[22:23]
	v_mul_f64 v[22:23], v[105:106], v[22:23]
	s_waitcnt vmcnt(13) lgkmcnt(1)
	v_mul_f64 v[123:124], v[115:116], v[3:4]
	v_mul_f64 v[3:4], v[113:114], v[3:4]
	v_fma_f64 v[121:122], v[105:106], v[20:21], -v[121:122]
	v_fma_f64 v[125:126], v[107:108], v[20:21], v[22:23]
	ds_read_b128 v[20:23], v104 offset:36864
	v_fma_f64 v[113:114], v[113:114], v[1:2], -v[123:124]
	ds_read_b128 v[105:108], v104 offset:38912
	s_waitcnt vmcnt(12) lgkmcnt(2)
	v_mul_f64 v[127:128], v[119:120], v[26:27]
	v_mul_f64 v[26:27], v[117:118], v[26:27]
	s_waitcnt vmcnt(11) lgkmcnt(1)
	v_mul_f64 v[123:124], v[22:23], v[30:31]
	v_mul_f64 v[30:31], v[20:21], v[30:31]
	v_fma_f64 v[115:116], v[115:116], v[1:2], v[3:4]
	ds_read_b128 v[0:3], v104 offset:40960
	v_fma_f64 v[117:118], v[117:118], v[24:25], -v[127:128]
	v_fma_f64 v[119:120], v[119:120], v[24:25], v[26:27]
	ds_read_b128 v[24:27], v104 offset:43008
	v_fma_f64 v[123:124], v[20:21], v[28:29], -v[123:124]
	v_fma_f64 v[131:132], v[22:23], v[28:29], v[30:31]
	ds_read_b128 v[20:23], v104 offset:45056
	s_waitcnt vmcnt(10) lgkmcnt(3)
	v_mul_f64 v[127:128], v[107:108], v[34:35]
	v_mul_f64 v[34:35], v[105:106], v[34:35]
	s_waitcnt vmcnt(9) lgkmcnt(2)
	v_mul_f64 v[129:130], v[2:3], v[38:39]
	v_mul_f64 v[38:39], v[0:1], v[38:39]
	v_fma_f64 v[105:106], v[105:106], v[32:33], -v[127:128]
	v_fma_f64 v[107:108], v[107:108], v[32:33], v[34:35]
	s_waitcnt vmcnt(8) lgkmcnt(1)
	v_mul_f64 v[28:29], v[26:27], v[42:43]
	v_mul_f64 v[32:33], v[24:25], v[42:43]
	v_fma_f64 v[127:128], v[0:1], v[36:37], -v[129:130]
	v_fma_f64 v[129:130], v[2:3], v[36:37], v[38:39]
	ds_read_b128 v[0:3], v104 offset:47104
	v_fma_f64 v[133:134], v[24:25], v[40:41], -v[28:29]
	ds_read_b128 v[28:31], v104 offset:49152
	v_fma_f64 v[135:136], v[26:27], v[40:41], v[32:33]
	ds_read_b128 v[24:27], v104 offset:51200
	s_waitcnt vmcnt(7) lgkmcnt(3)
	v_mul_f64 v[34:35], v[22:23], v[46:47]
	v_mul_f64 v[36:37], v[20:21], v[46:47]
	s_waitcnt vmcnt(6) lgkmcnt(2)
	v_mul_f64 v[38:39], v[2:3], v[50:51]
	v_mul_f64 v[42:43], v[0:1], v[50:51]
	s_waitcnt vmcnt(5) lgkmcnt(1)
	v_mul_f64 v[32:33], v[30:31], v[76:77]
	v_fma_f64 v[137:138], v[20:21], v[44:45], -v[34:35]
	v_mul_f64 v[20:21], v[28:29], v[76:77]
	v_fma_f64 v[139:140], v[22:23], v[44:45], v[36:37]
	v_fma_f64 v[141:142], v[0:1], v[48:49], -v[38:39]
	v_fma_f64 v[143:144], v[2:3], v[48:49], v[42:43]
	ds_read_b128 v[0:3], v104 offset:53248
	s_waitcnt vmcnt(4) lgkmcnt(1)
	v_mul_f64 v[34:35], v[26:27], v[80:81]
	v_fma_f64 v[145:146], v[28:29], v[74:75], -v[32:33]
	v_mul_f64 v[32:33], v[24:25], v[80:81]
	v_fma_f64 v[147:148], v[30:31], v[74:75], v[20:21]
	s_waitcnt vmcnt(3) lgkmcnt(0)
	v_mul_f64 v[36:37], v[2:3], v[86:87]
	ds_read_b128 v[20:23], v104 offset:55296
	ds_read_b128 v[28:31], v104 offset:57344
	v_mul_f64 v[38:39], v[0:1], v[86:87]
	v_fma_f64 v[149:150], v[24:25], v[78:79], -v[34:35]
	ds_read_b128 v[48:51], v104 offset:8192
	v_fma_f64 v[151:152], v[26:27], v[78:79], v[32:33]
	ds_read_b128 v[24:27], v104 offset:59392
	s_waitcnt vmcnt(2) lgkmcnt(3)
	v_mul_f64 v[34:35], v[22:23], v[90:91]
	v_mul_f64 v[32:33], v[20:21], v[90:91]
	s_waitcnt vmcnt(1) lgkmcnt(2)
	v_mul_f64 v[40:41], v[30:31], v[94:95]
	v_fma_f64 v[153:154], v[0:1], v[84:85], -v[36:37]
	v_mul_f64 v[36:37], v[28:29], v[94:95]
	v_fma_f64 v[155:156], v[2:3], v[84:85], v[38:39]
	ds_read_b128 v[0:3], v104
	s_waitcnt vmcnt(0) lgkmcnt(1)
	v_mul_f64 v[42:43], v[26:27], v[98:99]
	v_mul_f64 v[44:45], v[24:25], v[98:99]
	v_fma_f64 v[157:158], v[20:21], v[88:89], -v[34:35]
	v_fma_f64 v[159:160], v[22:23], v[88:89], v[32:33]
	ds_read_b128 v[20:23], v104 offset:2048
	v_fma_f64 v[161:162], v[28:29], v[92:93], -v[40:41]
	v_fma_f64 v[163:164], v[30:31], v[92:93], v[36:37]
	ds_read_b128 v[28:31], v104 offset:4096
	v_fma_f64 v[165:166], v[24:25], v[96:97], -v[42:43]
	v_fma_f64 v[167:168], v[26:27], v[96:97], v[44:45]
	s_waitcnt lgkmcnt(2)
	v_add_f64 v[24:25], v[0:1], -v[121:122]
	v_add_f64 v[26:27], v[2:3], -v[125:126]
	ds_read_b128 v[32:35], v104 offset:6144
	s_waitcnt lgkmcnt(2)
	v_add_f64 v[36:37], v[20:21], -v[113:114]
	v_add_f64 v[38:39], v[22:23], -v[115:116]
	ds_read_b128 v[74:77], v104 offset:10240
	ds_read_b128 v[84:87], v104 offset:12288
	s_waitcnt lgkmcnt(3)
	v_add_f64 v[40:41], v[28:29], -v[117:118]
	v_add_f64 v[42:43], v[30:31], -v[119:120]
	s_waitcnt lgkmcnt(2)
	v_add_f64 v[44:45], v[32:33], -v[123:124]
	v_add_f64 v[46:47], v[34:35], -v[131:132]
	v_fma_f64 v[0:1], v[0:1], 2.0, -v[24:25]
	v_fma_f64 v[2:3], v[2:3], 2.0, -v[26:27]
	v_add_f64 v[78:79], v[48:49], -v[105:106]
	v_add_f64 v[80:81], v[50:51], -v[107:108]
	s_waitcnt lgkmcnt(1)
	v_add_f64 v[88:89], v[74:75], -v[127:128]
	v_add_f64 v[90:91], v[76:77], -v[129:130]
	s_waitcnt lgkmcnt(0)
	v_add_f64 v[96:97], v[84:85], -v[133:134]
	v_add_f64 v[98:99], v[86:87], -v[135:136]
	v_fma_f64 v[20:21], v[20:21], 2.0, -v[36:37]
	v_fma_f64 v[22:23], v[22:23], 2.0, -v[38:39]
	;; [unrolled: 1-line block ×4, first 2 shown]
	ds_read_b128 v[92:95], v104 offset:16384
	v_fma_f64 v[32:33], v[32:33], 2.0, -v[44:45]
	v_fma_f64 v[34:35], v[34:35], 2.0, -v[46:47]
	;; [unrolled: 1-line block ×8, first 2 shown]
	ds_read_b128 v[113:116], v104 offset:18432
	ds_read_b128 v[117:120], v104 offset:20480
	;; [unrolled: 1-line block ×6, first 2 shown]
	s_waitcnt lgkmcnt(0)
	s_barrier
	ds_write_b128 v104, v[0:3]
	ds_write_b128 v104, v[24:27] offset:15360
	ds_write_b128 v104, v[20:23] offset:2048
	;; [unrolled: 1-line block ×13, first 2 shown]
	v_mov_b32_e32 v0, 0x7800
	v_cndmask_b32_e32 v0, 0, v0, vcc
	v_lshlrev_b32_e32 v1, 4, v57
	v_add_f64 v[105:106], v[109:110], -v[137:138]
	v_add_f64 v[107:108], v[111:112], -v[139:140]
	v_add3_u32 v4, 0, v0, v1
	v_add_f64 v[0:1], v[92:93], -v[141:142]
	v_add_f64 v[2:3], v[94:95], -v[143:144]
	;; [unrolled: 1-line block ×8, first 2 shown]
	v_fma_f64 v[109:110], v[109:110], 2.0, -v[105:106]
	v_fma_f64 v[111:112], v[111:112], 2.0, -v[107:108]
	;; [unrolled: 1-line block ×4, first 2 shown]
	v_add_f64 v[44:45], v[125:126], -v[157:158]
	v_add_f64 v[46:47], v[127:128], -v[159:160]
	;; [unrolled: 1-line block ×6, first 2 shown]
	v_fma_f64 v[32:33], v[113:114], 2.0, -v[20:21]
	v_fma_f64 v[34:35], v[115:116], 2.0, -v[22:23]
	;; [unrolled: 1-line block ×6, first 2 shown]
	ds_write_b128 v4, v[109:112]
	ds_write_b128 v4, v[105:108] offset:15360
	v_fma_f64 v[84:85], v[125:126], 2.0, -v[44:45]
	v_fma_f64 v[86:87], v[127:128], 2.0, -v[46:47]
	v_fma_f64 v[88:89], v[129:130], 2.0, -v[48:49]
	v_fma_f64 v[90:91], v[131:132], 2.0, -v[50:51]
	v_fma_f64 v[92:93], v[133:134], 2.0, -v[74:75]
	v_fma_f64 v[94:95], v[135:136], 2.0, -v[76:77]
	ds_write_b128 v104, v[28:31] offset:31744
	ds_write_b128 v104, v[0:3] offset:47104
	;; [unrolled: 1-line block ×14, first 2 shown]
	v_add_co_u32_e32 v0, vcc, s4, v9
	v_addc_co_u32_e32 v1, vcc, 0, v10, vcc
	v_add_co_u32_e32 v9, vcc, s4, v11
	v_addc_co_u32_e32 v10, vcc, 0, v12, vcc
	v_add_co_u32_e32 v13, vcc, s4, v13
	s_waitcnt lgkmcnt(0)
	s_barrier
	global_load_dwordx4 v[0:3], v[0:1], off offset:1888
	s_nop 0
	global_load_dwordx4 v[9:12], v[9:10], off offset:3936
	v_addc_co_u32_e32 v14, vcc, 0, v14, vcc
	v_add_co_u32_e32 v4, vcc, s4, v5
	v_addc_co_u32_e32 v5, vcc, 0, v6, vcc
	v_add_co_u32_e32 v28, vcc, s4, v7
	global_load_dwordx4 v[20:23], v[13:14], off offset:1888
	global_load_dwordx4 v[24:27], v[4:5], off offset:1888
	v_addc_co_u32_e32 v29, vcc, 0, v8, vcc
	v_add_co_u32_e32 v30, vcc, s4, v15
	v_addc_co_u32_e32 v31, vcc, 0, v16, vcc
	v_add_co_u32_e32 v17, vcc, s4, v17
	v_addc_co_u32_e32 v18, vcc, 0, v18, vcc
	v_add_co_u32_e32 v8, vcc, s12, v101
	global_load_dwordx4 v[4:7], v[28:29], off offset:1888
	global_load_dwordx4 v[13:16], v[30:31], off offset:1888
	v_addc_co_u32_e32 v28, vcc, 0, v19, vcc
	v_add_co_u32_e32 v36, vcc, s4, v8
	v_addc_co_u32_e32 v37, vcc, 0, v28, vcc
	v_add_co_u32_e32 v8, vcc, s12, v60
	global_load_dwordx4 v[28:31], v[17:18], off offset:1888
	global_load_dwordx4 v[32:35], v[36:37], off offset:1888
	v_addc_co_u32_e32 v18, vcc, v19, v61, vcc
	v_add_co_u32_e32 v17, vcc, s4, v8
	v_addc_co_u32_e32 v18, vcc, 0, v18, vcc
	v_add_co_u32_e32 v8, vcc, s12, v62
	;; [unrolled: 2-line block ×4, first 2 shown]
	global_load_dwordx4 v[36:39], v[17:18], off offset:1888
	global_load_dwordx4 v[40:43], v[44:45], off offset:1888
	v_addc_co_u32_e32 v18, vcc, v19, v65, vcc
	v_add_co_u32_e32 v17, vcc, s4, v8
	v_addc_co_u32_e32 v18, vcc, 0, v18, vcc
	v_add_co_u32_e32 v8, vcc, s12, v66
	;; [unrolled: 2-line block ×3, first 2 shown]
	v_addc_co_u32_e32 v61, vcc, 0, v44, vcc
	global_load_dwordx4 v[44:47], v[17:18], off offset:1888
	global_load_dwordx4 v[48:51], v[60:61], off offset:1888
	v_add_co_u32_e32 v8, vcc, s12, v68
	v_addc_co_u32_e32 v18, vcc, v19, v69, vcc
	v_add_co_u32_e32 v17, vcc, s4, v8
	v_addc_co_u32_e32 v18, vcc, 0, v18, vcc
	v_add_co_u32_e32 v8, vcc, s12, v70
	v_addc_co_u32_e32 v52, vcc, v19, v71, vcc
	v_add_co_u32_e32 v68, vcc, s4, v8
	v_addc_co_u32_e32 v69, vcc, 0, v52, vcc
	global_load_dwordx4 v[60:63], v[17:18], off offset:1888
	global_load_dwordx4 v[64:67], v[68:69], off offset:1888
	v_add_co_u32_e32 v8, vcc, s12, v72
	v_addc_co_u32_e32 v18, vcc, v19, v73, vcc
	v_add_co_u32_e32 v17, vcc, s4, v8
	v_addc_co_u32_e32 v18, vcc, 0, v18, vcc
	global_load_dwordx4 v[68:71], v[17:18], off offset:1888
	ds_read_b128 v[72:75], v104 offset:30720
	ds_read_b128 v[76:79], v104 offset:32768
	ds_read_b128 v[84:87], v83
	ds_read_b128 v[88:91], v104 offset:34816
	ds_read_b128 v[92:95], v104 offset:36864
	s_waitcnt vmcnt(14) lgkmcnt(4)
	v_mul_f64 v[17:18], v[74:75], v[2:3]
	v_mul_f64 v[2:3], v[72:73], v[2:3]
	s_waitcnt vmcnt(13) lgkmcnt(3)
	v_mul_f64 v[80:81], v[78:79], v[11:12]
	v_mul_f64 v[11:12], v[76:77], v[11:12]
	;; [unrolled: 3-line block ×3, first 2 shown]
	s_waitcnt vmcnt(11) lgkmcnt(0)
	v_mul_f64 v[102:103], v[94:95], v[26:27]
	ds_read_b128 v[96:99], v104 offset:38912
	v_fma_f64 v[105:106], v[72:73], v[0:1], -v[17:18]
	v_fma_f64 v[107:108], v[74:75], v[0:1], v[2:3]
	ds_read_b128 v[0:3], v104 offset:40960
	v_fma_f64 v[76:77], v[76:77], v[9:10], -v[80:81]
	v_fma_f64 v[78:79], v[78:79], v[9:10], v[11:12]
	;; [unrolled: 3-line block ×3, first 2 shown]
	ds_read_b128 v[17:20], v104 offset:45056
	v_fma_f64 v[90:91], v[92:93], v[24:25], -v[102:103]
	v_mul_f64 v[21:22], v[92:93], v[26:27]
	s_waitcnt vmcnt(9) lgkmcnt(2)
	v_mul_f64 v[92:93], v[2:3], v[15:16]
	v_mul_f64 v[15:16], v[0:1], v[15:16]
	v_mul_f64 v[26:27], v[98:99], v[6:7]
	v_mul_f64 v[6:7], v[96:97], v[6:7]
	s_waitcnt vmcnt(8) lgkmcnt(1)
	v_mul_f64 v[100:101], v[10:11], v[30:31]
	v_mul_f64 v[30:31], v[8:9], v[30:31]
	ds_read_b128 v[72:75], v104 offset:47104
	s_waitcnt vmcnt(7) lgkmcnt(1)
	v_mul_f64 v[102:103], v[19:20], v[34:35]
	v_fma_f64 v[92:93], v[0:1], v[13:14], -v[92:93]
	v_fma_f64 v[109:110], v[2:3], v[13:14], v[15:16]
	ds_read_b128 v[0:3], v104 offset:49152
	v_fma_f64 v[96:97], v[96:97], v[4:5], -v[26:27]
	v_fma_f64 v[98:99], v[98:99], v[4:5], v[6:7]
	v_fma_f64 v[100:101], v[8:9], v[28:29], -v[100:101]
	v_fma_f64 v[111:112], v[10:11], v[28:29], v[30:31]
	ds_read_b128 v[4:7], v104 offset:51200
	ds_read_b128 v[8:11], v104 offset:53248
	v_fma_f64 v[94:95], v[94:95], v[24:25], v[21:22]
	s_waitcnt vmcnt(5) lgkmcnt(2)
	v_mul_f64 v[25:26], v[2:3], v[42:43]
	v_mul_f64 v[27:28], v[0:1], v[42:43]
	;; [unrolled: 1-line block ×4, first 2 shown]
	v_fma_f64 v[102:103], v[17:18], v[32:33], -v[102:103]
	v_mul_f64 v[16:17], v[17:18], v[34:35]
	ds_read_b128 v[12:15], v104 offset:55296
	v_fma_f64 v[119:120], v[0:1], v[40:41], -v[25:26]
	v_fma_f64 v[121:122], v[2:3], v[40:41], v[27:28]
	ds_read_b128 v[0:3], v104 offset:57344
	v_fma_f64 v[115:116], v[72:73], v[36:37], -v[21:22]
	s_waitcnt vmcnt(4) lgkmcnt(3)
	v_mul_f64 v[29:30], v[6:7], v[46:47]
	s_waitcnt vmcnt(3) lgkmcnt(2)
	v_mul_f64 v[38:39], v[10:11], v[50:51]
	v_mul_f64 v[34:35], v[4:5], v[46:47]
	v_fma_f64 v[113:114], v[19:20], v[32:33], v[16:17]
	v_fma_f64 v[117:118], v[74:75], v[36:37], v[23:24]
	ds_read_b128 v[16:19], v104
	v_fma_f64 v[123:124], v[4:5], v[44:45], -v[29:30]
	v_fma_f64 v[127:128], v[8:9], v[48:49], -v[38:39]
	v_mul_f64 v[8:9], v[8:9], v[50:51]
	v_fma_f64 v[125:126], v[6:7], v[44:45], v[34:35]
	ds_read_b128 v[4:7], v104 offset:59392
	ds_read_b128 v[32:35], v104 offset:8192
	ds_read_b128 v[36:39], v104 offset:10240
	ds_read_b128 v[44:47], v104 offset:12288
	s_waitcnt vmcnt(2) lgkmcnt(6)
	v_mul_f64 v[20:21], v[14:15], v[62:63]
	v_mul_f64 v[22:23], v[12:13], v[62:63]
	s_waitcnt vmcnt(1) lgkmcnt(5)
	v_mul_f64 v[24:25], v[2:3], v[66:67]
	v_mul_f64 v[26:27], v[0:1], v[66:67]
	v_fma_f64 v[129:130], v[10:11], v[48:49], v[8:9]
	ds_read_b128 v[8:11], v104 offset:2048
	s_waitcnt lgkmcnt(3)
	v_add_f64 v[40:41], v[32:33], -v[96:97]
	v_add_f64 v[42:43], v[34:35], -v[98:99]
	v_fma_f64 v[131:132], v[12:13], v[60:61], -v[20:21]
	v_add_f64 v[12:13], v[16:17], -v[105:106]
	s_waitcnt vmcnt(0)
	v_mul_f64 v[28:29], v[6:7], v[70:71]
	v_mul_f64 v[30:31], v[4:5], v[70:71]
	v_fma_f64 v[105:106], v[14:15], v[60:61], v[22:23]
	v_add_f64 v[14:15], v[18:19], -v[107:108]
	v_fma_f64 v[133:134], v[0:1], v[64:65], -v[24:25]
	v_fma_f64 v[135:136], v[2:3], v[64:65], v[26:27]
	ds_read_b128 v[0:3], v104 offset:4096
	ds_read_b128 v[24:27], v104 offset:6144
	s_waitcnt lgkmcnt(2)
	v_add_f64 v[20:21], v[8:9], -v[76:77]
	v_add_f64 v[22:23], v[10:11], -v[78:79]
	v_fma_f64 v[137:138], v[4:5], v[68:69], -v[28:29]
	v_fma_f64 v[139:140], v[6:7], v[68:69], v[30:31]
	s_waitcnt lgkmcnt(1)
	v_add_f64 v[28:29], v[0:1], -v[80:81]
	v_add_f64 v[30:31], v[2:3], -v[88:89]
	v_fma_f64 v[4:5], v[16:17], 2.0, -v[12:13]
	v_fma_f64 v[6:7], v[18:19], 2.0, -v[14:15]
	s_waitcnt lgkmcnt(0)
	v_add_f64 v[16:17], v[24:25], -v[90:91]
	v_add_f64 v[18:19], v[26:27], -v[94:95]
	;; [unrolled: 1-line block ×8, first 2 shown]
	v_fma_f64 v[8:9], v[8:9], 2.0, -v[20:21]
	v_fma_f64 v[10:11], v[10:11], 2.0, -v[22:23]
	ds_read_b128 v[60:63], v104 offset:16384
	v_fma_f64 v[0:1], v[0:1], 2.0, -v[28:29]
	v_fma_f64 v[2:3], v[2:3], 2.0, -v[30:31]
	;; [unrolled: 1-line block ×12, first 2 shown]
	ds_read_b128 v[76:79], v104 offset:18432
	ds_read_b128 v[84:87], v104 offset:20480
	ds_read_b128 v[88:91], v104 offset:22528
	ds_read_b128 v[92:95], v104 offset:24576
	ds_read_b128 v[96:99], v104 offset:26624
	ds_read_b128 v[100:103], v104 offset:28672
	s_waitcnt lgkmcnt(0)
	s_barrier
	ds_write_b128 v104, v[4:7]
	ds_write_b128 v104, v[12:15] offset:30720
	ds_write_b128 v104, v[8:11] offset:2048
	;; [unrolled: 1-line block ×13, first 2 shown]
	v_add_f64 v[0:1], v[60:61], -v[115:116]
	v_add_f64 v[2:3], v[62:63], -v[117:118]
	;; [unrolled: 1-line block ×8, first 2 shown]
	v_fma_f64 v[12:13], v[60:61], 2.0, -v[0:1]
	v_fma_f64 v[14:15], v[62:63], 2.0, -v[2:3]
	v_add_f64 v[28:29], v[92:93], -v[131:132]
	v_add_f64 v[30:31], v[94:95], -v[105:106]
	;; [unrolled: 1-line block ×6, first 2 shown]
	v_fma_f64 v[16:17], v[76:77], 2.0, -v[4:5]
	v_fma_f64 v[18:19], v[78:79], 2.0, -v[6:7]
	;; [unrolled: 1-line block ×6, first 2 shown]
	ds_write_b128 v83, v[72:75]
	ds_write_b128 v83, v[68:71] offset:30720
	v_fma_f64 v[44:45], v[92:93], 2.0, -v[28:29]
	v_fma_f64 v[46:47], v[94:95], 2.0, -v[30:31]
	;; [unrolled: 1-line block ×6, first 2 shown]
	ds_write_b128 v104, v[12:15] offset:16384
	ds_write_b128 v104, v[0:3] offset:47104
	;; [unrolled: 1-line block ×14, first 2 shown]
	s_waitcnt lgkmcnt(0)
	s_barrier
	s_and_saveexec_b64 s[4:5], s[0:1]
	s_cbranch_execz .LBB0_21
; %bb.20:
	v_mul_lo_u32 v0, s3, v55
	v_mul_lo_u32 v1, s2, v56
	v_mad_u64_u32 v[4:5], s[0:1], s2, v55, 0
	v_mov_b32_e32 v6, s11
	v_lshl_add_u32 v10, v59, 4, 0
	v_add3_u32 v5, v5, v1, v0
	v_lshlrev_b64 v[4:5], 4, v[4:5]
	v_mov_b32_e32 v60, v58
	v_add_co_u32_e32 v7, vcc, s10, v4
	v_addc_co_u32_e32 v6, vcc, v6, v5, vcc
	v_lshlrev_b64 v[4:5], 4, v[53:54]
	ds_read_b128 v[0:3], v10
	v_add_co_u32_e32 v11, vcc, v7, v4
	v_addc_co_u32_e32 v12, vcc, v6, v5, vcc
	v_lshlrev_b64 v[4:5], 4, v[59:60]
	v_add_u32_e32 v57, 0x80, v59
	v_add_co_u32_e32 v8, vcc, v11, v4
	v_addc_co_u32_e32 v9, vcc, v12, v5, vcc
	ds_read_b128 v[4:7], v10 offset:2048
	s_waitcnt lgkmcnt(1)
	global_store_dwordx4 v[8:9], v[0:3], off
	s_nop 0
	v_lshlrev_b64 v[0:1], 4, v[57:58]
	v_add_u32_e32 v57, 0x100, v59
	v_add_co_u32_e32 v0, vcc, v11, v0
	v_addc_co_u32_e32 v1, vcc, v12, v1, vcc
	s_waitcnt lgkmcnt(0)
	global_store_dwordx4 v[0:1], v[4:7], off
	ds_read_b128 v[0:3], v10 offset:4096
	v_lshlrev_b64 v[4:5], 4, v[57:58]
	v_add_u32_e32 v57, 0x180, v59
	v_add_co_u32_e32 v8, vcc, v11, v4
	v_addc_co_u32_e32 v9, vcc, v12, v5, vcc
	ds_read_b128 v[4:7], v10 offset:6144
	s_waitcnt lgkmcnt(1)
	global_store_dwordx4 v[8:9], v[0:3], off
	s_nop 0
	v_lshlrev_b64 v[0:1], 4, v[57:58]
	v_add_u32_e32 v57, 0x200, v59
	v_add_co_u32_e32 v0, vcc, v11, v0
	v_addc_co_u32_e32 v1, vcc, v12, v1, vcc
	s_waitcnt lgkmcnt(0)
	global_store_dwordx4 v[0:1], v[4:7], off
	ds_read_b128 v[0:3], v10 offset:8192
	;; [unrolled: 15-line block ×14, first 2 shown]
	v_lshlrev_b64 v[4:5], 4, v[57:58]
	v_add_u32_e32 v57, 0xe80, v59
	v_add_co_u32_e32 v8, vcc, v11, v4
	v_addc_co_u32_e32 v9, vcc, v12, v5, vcc
	ds_read_b128 v[4:7], v10 offset:59392
	s_waitcnt lgkmcnt(1)
	global_store_dwordx4 v[8:9], v[0:3], off
	s_nop 0
	v_lshlrev_b64 v[0:1], 4, v[57:58]
	v_add_co_u32_e32 v0, vcc, v11, v0
	v_addc_co_u32_e32 v1, vcc, v12, v1, vcc
	s_waitcnt lgkmcnt(0)
	global_store_dwordx4 v[0:1], v[4:7], off
.LBB0_21:
	s_endpgm
	.section	.rodata,"a",@progbits
	.p2align	6, 0x0
	.amdhsa_kernel fft_rtc_fwd_len3840_factors_10_6_2_2_2_2_2_2_wgs_128_tpt_128_halfLds_dp_op_CI_CI_unitstride_sbrr_C2R_dirReg
		.amdhsa_group_segment_fixed_size 0
		.amdhsa_private_segment_fixed_size 0
		.amdhsa_kernarg_size 104
		.amdhsa_user_sgpr_count 6
		.amdhsa_user_sgpr_private_segment_buffer 1
		.amdhsa_user_sgpr_dispatch_ptr 0
		.amdhsa_user_sgpr_queue_ptr 0
		.amdhsa_user_sgpr_kernarg_segment_ptr 1
		.amdhsa_user_sgpr_dispatch_id 0
		.amdhsa_user_sgpr_flat_scratch_init 0
		.amdhsa_user_sgpr_private_segment_size 0
		.amdhsa_uses_dynamic_stack 0
		.amdhsa_system_sgpr_private_segment_wavefront_offset 0
		.amdhsa_system_sgpr_workgroup_id_x 1
		.amdhsa_system_sgpr_workgroup_id_y 0
		.amdhsa_system_sgpr_workgroup_id_z 0
		.amdhsa_system_sgpr_workgroup_info 0
		.amdhsa_system_vgpr_workitem_id 0
		.amdhsa_next_free_vgpr 237
		.amdhsa_next_free_sgpr 28
		.amdhsa_reserve_vcc 1
		.amdhsa_reserve_flat_scratch 0
		.amdhsa_float_round_mode_32 0
		.amdhsa_float_round_mode_16_64 0
		.amdhsa_float_denorm_mode_32 3
		.amdhsa_float_denorm_mode_16_64 3
		.amdhsa_dx10_clamp 1
		.amdhsa_ieee_mode 1
		.amdhsa_fp16_overflow 0
		.amdhsa_exception_fp_ieee_invalid_op 0
		.amdhsa_exception_fp_denorm_src 0
		.amdhsa_exception_fp_ieee_div_zero 0
		.amdhsa_exception_fp_ieee_overflow 0
		.amdhsa_exception_fp_ieee_underflow 0
		.amdhsa_exception_fp_ieee_inexact 0
		.amdhsa_exception_int_div_zero 0
	.end_amdhsa_kernel
	.text
.Lfunc_end0:
	.size	fft_rtc_fwd_len3840_factors_10_6_2_2_2_2_2_2_wgs_128_tpt_128_halfLds_dp_op_CI_CI_unitstride_sbrr_C2R_dirReg, .Lfunc_end0-fft_rtc_fwd_len3840_factors_10_6_2_2_2_2_2_2_wgs_128_tpt_128_halfLds_dp_op_CI_CI_unitstride_sbrr_C2R_dirReg
                                        ; -- End function
	.section	.AMDGPU.csdata,"",@progbits
; Kernel info:
; codeLenInByte = 27036
; NumSgprs: 32
; NumVgprs: 237
; ScratchSize: 0
; MemoryBound: 0
; FloatMode: 240
; IeeeMode: 1
; LDSByteSize: 0 bytes/workgroup (compile time only)
; SGPRBlocks: 3
; VGPRBlocks: 59
; NumSGPRsForWavesPerEU: 32
; NumVGPRsForWavesPerEU: 237
; Occupancy: 1
; WaveLimiterHint : 1
; COMPUTE_PGM_RSRC2:SCRATCH_EN: 0
; COMPUTE_PGM_RSRC2:USER_SGPR: 6
; COMPUTE_PGM_RSRC2:TRAP_HANDLER: 0
; COMPUTE_PGM_RSRC2:TGID_X_EN: 1
; COMPUTE_PGM_RSRC2:TGID_Y_EN: 0
; COMPUTE_PGM_RSRC2:TGID_Z_EN: 0
; COMPUTE_PGM_RSRC2:TIDIG_COMP_CNT: 0
	.type	__hip_cuid_d9c61668b5b485ec,@object ; @__hip_cuid_d9c61668b5b485ec
	.section	.bss,"aw",@nobits
	.globl	__hip_cuid_d9c61668b5b485ec
__hip_cuid_d9c61668b5b485ec:
	.byte	0                               ; 0x0
	.size	__hip_cuid_d9c61668b5b485ec, 1

	.ident	"AMD clang version 19.0.0git (https://github.com/RadeonOpenCompute/llvm-project roc-6.4.0 25133 c7fe45cf4b819c5991fe208aaa96edf142730f1d)"
	.section	".note.GNU-stack","",@progbits
	.addrsig
	.addrsig_sym __hip_cuid_d9c61668b5b485ec
	.amdgpu_metadata
---
amdhsa.kernels:
  - .args:
      - .actual_access:  read_only
        .address_space:  global
        .offset:         0
        .size:           8
        .value_kind:     global_buffer
      - .offset:         8
        .size:           8
        .value_kind:     by_value
      - .actual_access:  read_only
        .address_space:  global
        .offset:         16
        .size:           8
        .value_kind:     global_buffer
      - .actual_access:  read_only
        .address_space:  global
        .offset:         24
        .size:           8
        .value_kind:     global_buffer
      - .actual_access:  read_only
        .address_space:  global
        .offset:         32
        .size:           8
        .value_kind:     global_buffer
      - .offset:         40
        .size:           8
        .value_kind:     by_value
      - .actual_access:  read_only
        .address_space:  global
        .offset:         48
        .size:           8
        .value_kind:     global_buffer
      - .actual_access:  read_only
        .address_space:  global
        .offset:         56
        .size:           8
        .value_kind:     global_buffer
      - .offset:         64
        .size:           4
        .value_kind:     by_value
      - .actual_access:  read_only
        .address_space:  global
        .offset:         72
        .size:           8
        .value_kind:     global_buffer
      - .actual_access:  read_only
        .address_space:  global
        .offset:         80
        .size:           8
        .value_kind:     global_buffer
      - .actual_access:  read_only
        .address_space:  global
        .offset:         88
        .size:           8
        .value_kind:     global_buffer
      - .actual_access:  write_only
        .address_space:  global
        .offset:         96
        .size:           8
        .value_kind:     global_buffer
    .group_segment_fixed_size: 0
    .kernarg_segment_align: 8
    .kernarg_segment_size: 104
    .language:       OpenCL C
    .language_version:
      - 2
      - 0
    .max_flat_workgroup_size: 128
    .name:           fft_rtc_fwd_len3840_factors_10_6_2_2_2_2_2_2_wgs_128_tpt_128_halfLds_dp_op_CI_CI_unitstride_sbrr_C2R_dirReg
    .private_segment_fixed_size: 0
    .sgpr_count:     32
    .sgpr_spill_count: 0
    .symbol:         fft_rtc_fwd_len3840_factors_10_6_2_2_2_2_2_2_wgs_128_tpt_128_halfLds_dp_op_CI_CI_unitstride_sbrr_C2R_dirReg.kd
    .uniform_work_group_size: 1
    .uses_dynamic_stack: false
    .vgpr_count:     237
    .vgpr_spill_count: 0
    .wavefront_size: 64
amdhsa.target:   amdgcn-amd-amdhsa--gfx906
amdhsa.version:
  - 1
  - 2
...

	.end_amdgpu_metadata
